;; amdgpu-corpus repo=ROCm/rocFFT kind=compiled arch=gfx950 opt=O3
	.text
	.amdgcn_target "amdgcn-amd-amdhsa--gfx950"
	.amdhsa_code_object_version 6
	.protected	bluestein_single_fwd_len833_dim1_dp_op_CI_CI ; -- Begin function bluestein_single_fwd_len833_dim1_dp_op_CI_CI
	.globl	bluestein_single_fwd_len833_dim1_dp_op_CI_CI
	.p2align	8
	.type	bluestein_single_fwd_len833_dim1_dp_op_CI_CI,@function
bluestein_single_fwd_len833_dim1_dp_op_CI_CI: ; @bluestein_single_fwd_len833_dim1_dp_op_CI_CI
; %bb.0:
	s_load_dwordx4 s[8:11], s[0:1], 0x28
	v_mul_u32_u24_e32 v1, 0x227, v0
	v_add_u32_sdwa v2, s2, v1 dst_sel:DWORD dst_unused:UNUSED_PAD src0_sel:DWORD src1_sel:WORD_1
	v_mov_b32_e32 v3, 0
	v_accvgpr_write_b32 a0, v2
	s_waitcnt lgkmcnt(0)
	v_cmp_gt_u64_e32 vcc, s[8:9], v[2:3]
	s_and_saveexec_b64 s[2:3], vcc
	s_cbranch_execz .LBB0_15
; %bb.1:
	s_load_dwordx2 s[8:9], s[0:1], 0x0
	s_load_dwordx2 s[12:13], s[0:1], 0x38
	s_movk_i32 s2, 0x77
	v_mul_lo_u16_sdwa v1, v1, s2 dst_sel:DWORD dst_unused:UNUSED_PAD src0_sel:WORD_1 src1_sel:DWORD
	v_sub_u16_e32 v169, v0, v1
	v_cmp_gt_u16_e64 s[2:3], 49, v169
	v_lshlrev_b32_e32 v168, 4, v169
	s_and_saveexec_b64 s[14:15], s[2:3]
	s_cbranch_execz .LBB0_3
; %bb.2:
	s_load_dwordx2 s[4:5], s[0:1], 0x18
	v_accvgpr_read_b32 v10, a0
	v_mov_b32_e32 v0, s10
	v_mov_b32_e32 v1, s11
	;; [unrolled: 1-line block ×3, first 2 shown]
	s_waitcnt lgkmcnt(0)
	s_load_dwordx4 s[4:7], s[4:5], 0x0
	v_mov_b32_e32 v35, v169
	s_waitcnt lgkmcnt(0)
	v_mad_u64_u32 v[2:3], s[10:11], s6, v10, 0
	v_mad_u64_u32 v[4:5], s[10:11], s4, v169, 0
	v_mov_b32_e32 v6, v3
	v_mov_b32_e32 v8, v5
	v_mad_u64_u32 v[6:7], s[6:7], s7, v10, v[6:7]
	v_mov_b32_e32 v3, v6
	v_mad_u64_u32 v[6:7], s[6:7], s5, v169, v[8:9]
	v_mov_b32_e32 v5, v6
	v_lshl_add_u64 v[0:1], v[2:3], 4, v[0:1]
	v_lshl_add_u64 v[8:9], v[4:5], 4, v[0:1]
	v_mad_u64_u32 v[32:33], s[6:7], s4, v34, v[8:9]
	v_mov_b32_e32 v169, 0
	s_movk_i32 s6, 0x1000
	v_lshl_add_u64 v[100:101], s[8:9], 0, v[168:169]
	s_mulk_i32 s5, 0x310
	v_add_co_u32_e32 v96, vcc, s6, v100
	v_add_u32_e32 v33, s5, v33
	s_movk_i32 s7, 0x3000
	v_addc_co_u32_e32 v97, vcc, 0, v101, vcc
	global_load_dwordx4 v[0:3], v[8:9], off
	global_load_dwordx4 v[4:7], v168, s[8:9]
	v_add_co_u32_e32 v48, vcc, s7, v100
	global_load_dwordx4 v[8:11], v[32:33], off
	v_mad_u64_u32 v[32:33], s[6:7], s4, v34, v[32:33]
	v_addc_co_u32_e32 v49, vcc, 0, v101, vcc
	v_add_u32_e32 v33, s5, v33
	global_load_dwordx4 v[12:15], v168, s[8:9] offset:784
	global_load_dwordx4 v[16:19], v168, s[8:9] offset:1568
	;; [unrolled: 1-line block ×5, first 2 shown]
	global_load_dwordx4 v[36:39], v[96:97], off offset:608
	global_load_dwordx4 v[40:43], v[96:97], off offset:1392
	;; [unrolled: 1-line block ×3, first 2 shown]
	v_mov_b32_e32 v169, v35
	global_load_dwordx4 v[48:51], v[32:33], off
	v_mad_u64_u32 v[32:33], s[6:7], s4, v34, v[32:33]
	v_add_u32_e32 v33, s5, v33
	global_load_dwordx4 v[52:55], v[32:33], off
	v_mad_u64_u32 v[32:33], s[6:7], s4, v34, v[32:33]
	v_add_u32_e32 v33, s5, v33
	;; [unrolled: 3-line block ×6, first 2 shown]
	global_load_dwordx4 v[72:75], v[32:33], off
	global_load_dwordx4 v[76:79], v[96:97], off offset:2176
	global_load_dwordx4 v[80:83], v[96:97], off offset:2960
	v_mad_u64_u32 v[32:33], s[6:7], s4, v34, v[32:33]
	v_add_u32_e32 v33, s5, v33
	global_load_dwordx4 v[84:87], v[32:33], off
	v_mad_u64_u32 v[32:33], s[6:7], s4, v34, v[32:33]
	v_add_u32_e32 v33, s5, v33
	global_load_dwordx4 v[88:91], v[32:33], off
	global_load_dwordx4 v[92:95], v[96:97], off offset:3744
	v_mad_u64_u32 v[32:33], s[6:7], s4, v34, v[32:33]
	s_movk_i32 s6, 0x2000
	s_nop 0
	v_add_co_u32_e32 v132, vcc, s6, v100
	v_add_u32_e32 v33, s5, v33
	s_nop 0
	v_addc_co_u32_e32 v133, vcc, 0, v101, vcc
	global_load_dwordx4 v[96:99], v[32:33], off
	global_load_dwordx4 v[100:103], v[132:133], off offset:432
	v_mad_u64_u32 v[32:33], s[6:7], s4, v34, v[32:33]
	v_add_u32_e32 v33, s5, v33
	global_load_dwordx4 v[104:107], v[32:33], off
	global_load_dwordx4 v[108:111], v[132:133], off offset:1216
	v_mad_u64_u32 v[32:33], s[6:7], s4, v34, v[32:33]
	v_add_u32_e32 v33, s5, v33
	;; [unrolled: 4-line block ×4, first 2 shown]
	global_load_dwordx4 v[128:131], v[32:33], off
	s_nop 0
	global_load_dwordx4 v[132:135], v[132:133], off offset:3568
	v_mad_u64_u32 v[32:33], s[6:7], s4, v34, v[32:33]
	v_add_u32_e32 v33, s5, v33
	global_load_dwordx4 v[32:35], v[32:33], off
	s_waitcnt vmcnt(32)
	v_mul_f64 v[136:137], v[0:1], v[6:7]
	v_fma_f64 v[138:139], v[2:3], v[4:5], -v[136:137]
	v_mul_f64 v[136:137], v[2:3], v[6:7]
	v_fmac_f64_e32 v[136:137], v[0:1], v[4:5]
	s_waitcnt vmcnt(30)
	v_mul_f64 v[0:1], v[8:9], v[14:15]
	v_fma_f64 v[2:3], v[10:11], v[12:13], -v[0:1]
	v_mul_f64 v[0:1], v[10:11], v[14:15]
	v_fmac_f64_e32 v[0:1], v[8:9], v[12:13]
	ds_write_b128 v168, v[136:139]
	ds_write_b128 v168, v[0:3] offset:784
	s_waitcnt vmcnt(22)
	v_mul_f64 v[0:1], v[48:49], v[18:19]
	v_fma_f64 v[2:3], v[50:51], v[16:17], -v[0:1]
	v_mul_f64 v[0:1], v[50:51], v[18:19]
	v_fmac_f64_e32 v[0:1], v[48:49], v[16:17]
	ds_write_b128 v168, v[0:3] offset:1568
	s_waitcnt vmcnt(21)
	v_mul_f64 v[0:1], v[54:55], v[22:23]
	v_mul_f64 v[2:3], v[52:53], v[22:23]
	v_fmac_f64_e32 v[0:1], v[52:53], v[20:21]
	v_fma_f64 v[2:3], v[54:55], v[20:21], -v[2:3]
	ds_write_b128 v168, v[0:3] offset:2352
	s_waitcnt vmcnt(20)
	v_mul_f64 v[0:1], v[58:59], v[26:27]
	v_mul_f64 v[2:3], v[56:57], v[26:27]
	v_fmac_f64_e32 v[0:1], v[56:57], v[24:25]
	v_fma_f64 v[2:3], v[58:59], v[24:25], -v[2:3]
	;; [unrolled: 6-line block ×5, first 2 shown]
	s_waitcnt vmcnt(15)
	v_mul_f64 v[4:5], v[74:75], v[78:79]
	v_mul_f64 v[6:7], v[72:73], v[78:79]
	v_fmac_f64_e32 v[4:5], v[72:73], v[76:77]
	v_fma_f64 v[6:7], v[74:75], v[76:77], -v[6:7]
	ds_write_b128 v168, v[0:3] offset:5488
	ds_write_b128 v168, v[4:7] offset:6272
	s_waitcnt vmcnt(13)
	v_mul_f64 v[0:1], v[86:87], v[82:83]
	v_mul_f64 v[2:3], v[84:85], v[82:83]
	v_fmac_f64_e32 v[0:1], v[84:85], v[80:81]
	v_fma_f64 v[2:3], v[86:87], v[80:81], -v[2:3]
	ds_write_b128 v168, v[0:3] offset:7056
	s_waitcnt vmcnt(11)
	v_mul_f64 v[0:1], v[90:91], v[94:95]
	v_mul_f64 v[2:3], v[88:89], v[94:95]
	v_fmac_f64_e32 v[0:1], v[88:89], v[92:93]
	v_fma_f64 v[2:3], v[90:91], v[92:93], -v[2:3]
	;; [unrolled: 6-line block ×8, first 2 shown]
	ds_write_b128 v168, v[0:3] offset:12544
.LBB0_3:
	s_or_b64 exec, exec, s[14:15]
	s_load_dwordx2 s[4:5], s[0:1], 0x20
	s_load_dwordx2 s[10:11], s[0:1], 0x8
	s_waitcnt lgkmcnt(0)
	s_barrier
	s_waitcnt lgkmcnt(0)
                                        ; implicit-def: $vgpr36_vgpr37
                                        ; implicit-def: $vgpr40_vgpr41
                                        ; implicit-def: $vgpr44_vgpr45
                                        ; implicit-def: $vgpr48_vgpr49
                                        ; implicit-def: $vgpr52_vgpr53
                                        ; implicit-def: $vgpr60_vgpr61
                                        ; implicit-def: $vgpr64_vgpr65
                                        ; implicit-def: $vgpr68_vgpr69
                                        ; implicit-def: $vgpr72_vgpr73
                                        ; implicit-def: $vgpr76_vgpr77
                                        ; implicit-def: $vgpr80_vgpr81
                                        ; implicit-def: $vgpr84_vgpr85
                                        ; implicit-def: $vgpr88_vgpr89
                                        ; implicit-def: $vgpr92_vgpr93
                                        ; implicit-def: $vgpr96_vgpr97
                                        ; implicit-def: $vgpr100_vgpr101
                                        ; implicit-def: $vgpr104_vgpr105
	s_and_saveexec_b64 s[0:1], s[2:3]
	s_cbranch_execz .LBB0_5
; %bb.4:
	ds_read_b128 v[36:39], v168
	ds_read_b128 v[40:43], v168 offset:784
	ds_read_b128 v[44:47], v168 offset:1568
	;; [unrolled: 1-line block ×16, first 2 shown]
.LBB0_5:
	s_or_b64 exec, exec, s[0:1]
	s_mov_b32 s40, 0x5d8e7cdc
	s_waitcnt lgkmcnt(0)
	v_add_f64 v[26:27], v[42:43], -v[106:107]
	s_mov_b32 s41, 0xbfd71e95
	s_mov_b32 s48, 0x2a9d6da3
	;; [unrolled: 1-line block ×3, first 2 shown]
	v_mul_f64 v[0:1], v[26:27], s[40:41]
	s_mov_b32 s49, 0xbfe58eea
	v_add_f64 v[110:111], v[46:47], -v[102:103]
	v_add_f64 v[130:131], v[40:41], v[104:105]
	v_add_f64 v[28:29], v[40:41], -v[104:105]
	s_mov_b32 s1, 0x3fedd6d0
	v_accvgpr_write_b32 a11, v1
	s_mov_b32 s20, 0x75d4884
	v_mul_f64 v[112:113], v[110:111], s[48:49]
	v_add_f64 v[132:133], v[42:43], v[106:107]
	v_mul_f64 v[2:3], v[28:29], s[40:41]
	v_accvgpr_write_b32 a10, v0
	v_fma_f64 v[0:1], s[0:1], v[130:131], v[0:1]
	s_mov_b32 s21, 0x3fe7a5f6
	v_add_f64 v[144:145], v[44:45], v[100:101]
	v_add_f64 v[108:109], v[44:45], -v[100:101]
	v_accvgpr_write_b32 a24, v112
	v_add_f64 v[34:35], v[36:37], v[0:1]
	v_accvgpr_write_b32 a13, v3
	v_fma_f64 v[0:1], v[132:133], s[0:1], -v[2:3]
	s_mov_b32 s42, 0xeb564b22
	v_add_f64 v[148:149], v[46:47], v[102:103]
	v_mul_f64 v[114:115], v[108:109], s[48:49]
	v_accvgpr_write_b32 a25, v113
	v_fma_f64 v[112:113], s[20:21], v[144:145], v[112:113]
	v_accvgpr_write_b32 a12, v2
	v_add_f64 v[0:1], v[38:39], v[0:1]
	v_mul_f64 v[2:3], v[26:27], s[48:49]
	s_mov_b32 s43, 0xbfefdd0d
	v_add_f64 v[34:35], v[112:113], v[34:35]
	v_fma_f64 v[112:113], v[148:149], s[20:21], -v[114:115]
	v_mul_f64 v[4:5], v[28:29], s[48:49]
	v_accvgpr_write_b32 a15, v3
	s_mov_b32 s16, 0x3259b75e
	v_add_f64 v[0:1], v[112:113], v[0:1]
	v_mul_f64 v[112:113], v[110:111], s[42:43]
	v_accvgpr_write_b32 a14, v2
	v_fma_f64 v[2:3], s[20:21], v[130:131], v[2:3]
	v_accvgpr_write_b32 a17, v5
	s_mov_b32 s36, 0x7c9e640b
	s_mov_b32 s17, 0x3fb79ee6
	v_accvgpr_write_b32 a28, v114
	v_accvgpr_write_b32 a32, v112
	v_add_f64 v[2:3], v[36:37], v[2:3]
	v_accvgpr_write_b32 a16, v4
	v_fma_f64 v[4:5], v[132:133], s[20:21], -v[4:5]
	s_mov_b32 s37, 0xbfeca52d
	s_mov_b32 s28, 0x6c9a05f6
	v_accvgpr_write_b32 a29, v115
	v_mul_f64 v[114:115], v[108:109], s[42:43]
	v_accvgpr_write_b32 a33, v113
	v_fma_f64 v[112:113], s[16:17], v[144:145], v[112:113]
	v_add_f64 v[4:5], v[38:39], v[4:5]
	s_mov_b32 s6, 0x2b2883cd
	v_mul_f64 v[6:7], v[26:27], s[36:37]
	s_mov_b32 s29, 0xbfe9895b
	v_add_f64 v[2:3], v[112:113], v[2:3]
	v_fma_f64 v[112:113], v[148:149], s[16:17], -v[114:115]
	s_mov_b32 s7, 0x3fdc86fa
	v_accvgpr_write_b32 a19, v7
	s_mov_b32 s18, 0x6ed5f1bb
	v_add_f64 v[4:5], v[112:113], v[4:5]
	v_mul_f64 v[112:113], v[110:111], s[28:29]
	v_mul_f64 v[8:9], v[28:29], s[36:37]
	v_accvgpr_write_b32 a18, v6
	v_fma_f64 v[6:7], s[6:7], v[130:131], v[6:7]
	s_mov_b32 s19, 0xbfe348c8
	v_accvgpr_write_b32 a34, v114
	v_accvgpr_write_b32 a42, v112
	v_add_f64 v[14:15], v[36:37], v[6:7]
	v_fma_f64 v[6:7], v[132:133], s[6:7], -v[8:9]
	s_mov_b32 s38, 0xacd6c6b4
	v_accvgpr_write_b32 a35, v115
	v_mul_f64 v[114:115], v[108:109], s[28:29]
	v_accvgpr_write_b32 a43, v113
	v_fma_f64 v[112:113], s[18:19], v[144:145], v[112:113]
	v_add_f64 v[16:17], v[38:39], v[6:7]
	v_mul_f64 v[6:7], v[26:27], s[42:43]
	s_mov_b32 s39, 0xbfc7851a
	v_add_f64 v[14:15], v[112:113], v[14:15]
	v_fma_f64 v[112:113], v[148:149], s[18:19], -v[114:115]
	v_accvgpr_write_b32 a21, v9
	v_accvgpr_write_b32 a23, v7
	s_mov_b32 s24, 0x7faef3
	v_add_f64 v[16:17], v[112:113], v[16:17]
	v_mul_f64 v[112:113], v[110:111], s[38:39]
	v_accvgpr_write_b32 a20, v8
	v_mul_f64 v[8:9], v[28:29], s[42:43]
	v_accvgpr_write_b32 a22, v6
	v_fma_f64 v[6:7], s[16:17], v[130:131], v[6:7]
	s_mov_b32 s26, 0x923c349f
	s_mov_b32 s25, 0xbfef7484
	v_accvgpr_write_b32 a44, v114
	v_accvgpr_write_b32 a50, v112
	v_add_f64 v[56:57], v[36:37], v[6:7]
	v_fma_f64 v[6:7], v[132:133], s[16:17], -v[8:9]
	s_mov_b32 s27, 0xbfeec746
	s_mov_b32 s34, 0x4363dd80
	v_accvgpr_write_b32 a45, v115
	v_mul_f64 v[114:115], v[108:109], s[38:39]
	v_accvgpr_write_b32 a51, v113
	v_fma_f64 v[112:113], s[24:25], v[144:145], v[112:113]
	v_accvgpr_write_b32 a27, v9
	v_add_f64 v[58:59], v[38:39], v[6:7]
	s_mov_b32 s14, 0xc61f0d01
	v_mul_f64 v[6:7], v[26:27], s[26:27]
	s_mov_b32 s35, 0xbfe0d888
	v_add_f64 v[56:57], v[112:113], v[56:57]
	v_fma_f64 v[112:113], v[148:149], s[24:25], -v[114:115]
	s_mov_b32 s53, 0x3fe0d888
	s_mov_b32 s52, s34
	v_accvgpr_write_b32 a26, v8
	s_mov_b32 s15, 0xbfd183b1
	v_mul_f64 v[8:9], v[28:29], s[26:27]
	v_accvgpr_write_b32 a31, v7
	s_mov_b32 s22, 0x910ea3b9
	v_add_f64 v[58:59], v[112:113], v[58:59]
	v_mul_f64 v[112:113], v[110:111], s[52:53]
	v_accvgpr_write_b32 a30, v6
	v_fma_f64 v[6:7], s[14:15], v[130:131], v[6:7]
	v_accvgpr_write_b32 a37, v9
	s_mov_b32 s23, 0xbfeb34fa
	v_accvgpr_write_b32 a54, v114
	v_accvgpr_write_b32 a58, v112
	v_add_f64 v[6:7], v[36:37], v[6:7]
	v_accvgpr_write_b32 a36, v8
	v_fma_f64 v[8:9], v[132:133], s[14:15], -v[8:9]
	v_accvgpr_write_b32 a55, v115
	v_mul_f64 v[114:115], v[108:109], s[52:53]
	v_accvgpr_write_b32 a59, v113
	v_fma_f64 v[112:113], s[22:23], v[144:145], v[112:113]
	v_add_f64 v[8:9], v[38:39], v[8:9]
	v_mul_f64 v[10:11], v[26:27], s[28:29]
	v_add_f64 v[6:7], v[112:113], v[6:7]
	v_fma_f64 v[112:113], v[148:149], s[22:23], -v[114:115]
	s_mov_b32 s51, 0x3feec746
	s_mov_b32 s50, s26
	v_mul_f64 v[12:13], v[28:29], s[28:29]
	v_accvgpr_write_b32 a39, v11
	v_add_f64 v[8:9], v[112:113], v[8:9]
	v_mul_f64 v[112:113], v[110:111], s[50:51]
	v_accvgpr_write_b32 a38, v10
	v_fma_f64 v[10:11], s[18:19], v[130:131], v[10:11]
	v_accvgpr_write_b32 a41, v13
	v_accvgpr_write_b32 a60, v114
	;; [unrolled: 1-line block ×3, first 2 shown]
	v_add_f64 v[10:11], v[36:37], v[10:11]
	v_accvgpr_write_b32 a40, v12
	v_fma_f64 v[12:13], v[132:133], s[18:19], -v[12:13]
	v_accvgpr_write_b32 a61, v115
	v_mul_f64 v[114:115], v[108:109], s[50:51]
	v_accvgpr_write_b32 a65, v113
	v_fma_f64 v[112:113], s[14:15], v[144:145], v[112:113]
	v_add_f64 v[12:13], v[38:39], v[12:13]
	v_mul_f64 v[22:23], v[26:27], s[34:35]
	v_add_f64 v[10:11], v[112:113], v[10:11]
	v_fma_f64 v[112:113], v[148:149], s[14:15], -v[114:115]
	s_mov_b32 s31, 0x3feca52d
	s_mov_b32 s30, s36
	v_fma_f64 v[18:19], v[130:131], s[22:23], -v[22:23]
	v_accvgpr_write_b32 a66, v114
	v_add_f64 v[12:13], v[112:113], v[12:13]
	v_mul_f64 v[112:113], v[110:111], s[30:31]
	v_add_f64 v[18:19], v[36:37], v[18:19]
	v_mul_f64 v[24:25], v[28:29], s[34:35]
	v_fmac_f64_e32 v[22:23], s[22:23], v[130:131]
	v_accvgpr_write_b32 a67, v115
	v_fma_f64 v[114:115], v[144:145], s[6:7], -v[112:113]
	v_fma_f64 v[20:21], s[22:23], v[132:133], v[24:25]
	v_add_f64 v[22:23], v[36:37], v[22:23]
	v_fma_f64 v[24:25], v[132:133], s[22:23], -v[24:25]
	v_mul_f64 v[30:31], v[26:27], s[38:39]
	v_add_f64 v[18:19], v[114:115], v[18:19]
	v_mul_f64 v[114:115], v[108:109], s[30:31]
	v_fmac_f64_e32 v[112:113], s[6:7], v[144:145]
	s_mov_b32 s47, 0x3fd71e95
	s_mov_b32 s46, s40
	v_add_f64 v[24:25], v[38:39], v[24:25]
	v_fma_f64 v[26:27], v[130:131], s[24:25], -v[30:31]
	v_mul_f64 v[32:33], v[28:29], s[38:39]
	v_fmac_f64_e32 v[30:31], s[24:25], v[130:131]
	v_add_f64 v[22:23], v[112:113], v[22:23]
	v_fma_f64 v[112:113], v[148:149], s[6:7], -v[114:115]
	v_mul_f64 v[110:111], v[110:111], s[46:47]
	v_add_f64 v[26:27], v[36:37], v[26:27]
	v_fma_f64 v[28:29], s[24:25], v[132:133], v[32:33]
	v_add_f64 v[30:31], v[36:37], v[30:31]
	v_add_f64 v[24:25], v[112:113], v[24:25]
	v_fma_f64 v[112:113], v[144:145], s[0:1], -v[110:111]
	v_mul_f64 v[108:109], v[108:109], s[46:47]
	v_fmac_f64_e32 v[110:111], s[0:1], v[144:145]
	v_add_f64 v[28:29], v[38:39], v[28:29]
	v_fma_f64 v[32:33], v[132:133], s[24:25], -v[32:33]
	v_add_f64 v[26:27], v[112:113], v[26:27]
	v_fma_f64 v[112:113], s[0:1], v[148:149], v[108:109]
	v_add_f64 v[30:31], v[110:111], v[30:31]
	v_add_f64 v[110:111], v[50:51], -v[98:99]
	v_add_f64 v[32:33], v[38:39], v[32:33]
	v_add_f64 v[28:29], v[112:113], v[28:29]
	v_fma_f64 v[108:109], v[148:149], s[0:1], -v[108:109]
	v_mul_f64 v[112:113], v[110:111], s[36:37]
	v_add_f64 v[32:33], v[108:109], v[32:33]
	v_add_f64 v[172:173], v[48:49], v[96:97]
	v_add_f64 v[108:109], v[48:49], -v[96:97]
	v_accvgpr_write_b32 a46, v112
	v_fma_f64 v[116:117], s[6:7], v[148:149], v[114:115]
	v_add_f64 v[174:175], v[50:51], v[98:99]
	v_mul_f64 v[114:115], v[108:109], s[36:37]
	v_accvgpr_write_b32 a47, v113
	v_fma_f64 v[112:113], s[6:7], v[172:173], v[112:113]
	v_add_f64 v[34:35], v[112:113], v[34:35]
	v_fma_f64 v[112:113], v[174:175], s[6:7], -v[114:115]
	v_add_f64 v[0:1], v[112:113], v[0:1]
	v_mul_f64 v[112:113], v[110:111], s[28:29]
	v_accvgpr_write_b32 a48, v114
	v_accvgpr_write_b32 a52, v112
	;; [unrolled: 1-line block ×3, first 2 shown]
	v_mul_f64 v[114:115], v[108:109], s[28:29]
	v_accvgpr_write_b32 a53, v113
	v_fma_f64 v[112:113], s[18:19], v[172:173], v[112:113]
	v_add_f64 v[2:3], v[112:113], v[2:3]
	v_fma_f64 v[112:113], v[174:175], s[18:19], -v[114:115]
	s_mov_b32 s45, 0x3fc7851a
	s_mov_b32 s44, s38
	v_add_f64 v[4:5], v[112:113], v[4:5]
	v_mul_f64 v[112:113], v[110:111], s[44:45]
	v_accvgpr_write_b32 a56, v114
	v_accvgpr_write_b32 a62, v112
	;; [unrolled: 1-line block ×3, first 2 shown]
	v_mul_f64 v[114:115], v[108:109], s[44:45]
	v_accvgpr_write_b32 a63, v113
	v_fma_f64 v[112:113], s[24:25], v[172:173], v[112:113]
	v_add_f64 v[14:15], v[112:113], v[14:15]
	v_fma_f64 v[112:113], v[174:175], s[24:25], -v[114:115]
	v_add_f64 v[16:17], v[112:113], v[16:17]
	v_mul_f64 v[112:113], v[110:111], s[50:51]
	v_accvgpr_write_b32 a70, v114
	v_accvgpr_write_b32 a74, v112
	;; [unrolled: 1-line block ×3, first 2 shown]
	v_mul_f64 v[114:115], v[108:109], s[50:51]
	v_accvgpr_write_b32 a75, v113
	v_fma_f64 v[112:113], s[14:15], v[172:173], v[112:113]
	v_add_f64 v[56:57], v[112:113], v[56:57]
	v_fma_f64 v[112:113], v[174:175], s[14:15], -v[114:115]
	s_mov_b32 s45, 0x3fe58eea
	s_mov_b32 s44, s48
	v_add_f64 v[58:59], v[112:113], v[58:59]
	v_mul_f64 v[112:113], v[110:111], s[44:45]
	v_accvgpr_write_b32 a80, v114
	v_accvgpr_write_b32 a82, v112
	;; [unrolled: 1-line block ×3, first 2 shown]
	v_mul_f64 v[114:115], v[108:109], s[44:45]
	v_accvgpr_write_b32 a83, v113
	v_fma_f64 v[112:113], s[20:21], v[172:173], v[112:113]
	v_add_f64 v[6:7], v[112:113], v[6:7]
	v_fma_f64 v[112:113], v[174:175], s[20:21], -v[114:115]
	v_add_f64 v[8:9], v[112:113], v[8:9]
	v_mul_f64 v[112:113], v[110:111], s[40:41]
	v_accvgpr_write_b32 a84, v114
	v_accvgpr_write_b32 a88, v112
	;; [unrolled: 1-line block ×3, first 2 shown]
	v_mul_f64 v[114:115], v[108:109], s[40:41]
	v_accvgpr_write_b32 a89, v113
	v_fma_f64 v[112:113], s[0:1], v[172:173], v[112:113]
	v_add_f64 v[10:11], v[112:113], v[10:11]
	v_fma_f64 v[112:113], v[174:175], s[0:1], -v[114:115]
	v_accvgpr_write_b32 a90, v114
	v_add_f64 v[12:13], v[112:113], v[12:13]
	v_mul_f64 v[112:113], v[110:111], s[42:43]
	v_accvgpr_write_b32 a91, v115
	v_fma_f64 v[114:115], v[172:173], s[16:17], -v[112:113]
	v_add_f64 v[18:19], v[114:115], v[18:19]
	v_mul_f64 v[114:115], v[108:109], s[42:43]
	v_fmac_f64_e32 v[112:113], s[16:17], v[172:173]
	v_add_f64 v[22:23], v[112:113], v[22:23]
	v_fma_f64 v[112:113], v[174:175], s[16:17], -v[114:115]
	v_mul_f64 v[110:111], v[110:111], s[34:35]
	v_add_f64 v[24:25], v[112:113], v[24:25]
	v_fma_f64 v[112:113], v[172:173], s[22:23], -v[110:111]
	v_mul_f64 v[108:109], v[108:109], s[34:35]
	v_fmac_f64_e32 v[110:111], s[22:23], v[172:173]
	v_add_f64 v[26:27], v[112:113], v[26:27]
	v_fma_f64 v[112:113], s[22:23], v[174:175], v[108:109]
	v_add_f64 v[30:31], v[110:111], v[30:31]
	v_add_f64 v[110:111], v[54:55], -v[94:95]
	v_add_f64 v[28:29], v[112:113], v[28:29]
	v_fma_f64 v[108:109], v[174:175], s[22:23], -v[108:109]
	v_mul_f64 v[112:113], v[110:111], s[42:43]
	v_add_f64 v[20:21], v[38:39], v[20:21]
	v_add_f64 v[32:33], v[108:109], v[32:33]
	;; [unrolled: 1-line block ×3, first 2 shown]
	v_add_f64 v[108:109], v[52:53], -v[92:93]
	v_accvgpr_write_b32 a68, v112
	v_add_f64 v[20:21], v[116:117], v[20:21]
	v_fma_f64 v[116:117], s[16:17], v[174:175], v[114:115]
	v_add_f64 v[200:201], v[54:55], v[94:95]
	v_mul_f64 v[114:115], v[108:109], s[42:43]
	v_accvgpr_write_b32 a69, v113
	v_fma_f64 v[112:113], s[16:17], v[198:199], v[112:113]
	v_add_f64 v[34:35], v[112:113], v[34:35]
	v_fma_f64 v[112:113], v[200:201], s[16:17], -v[114:115]
	v_add_f64 v[0:1], v[112:113], v[0:1]
	v_mul_f64 v[112:113], v[110:111], s[38:39]
	v_accvgpr_write_b32 a72, v114
	v_accvgpr_write_b32 a76, v112
	;; [unrolled: 1-line block ×3, first 2 shown]
	v_mul_f64 v[114:115], v[108:109], s[38:39]
	v_accvgpr_write_b32 a77, v113
	v_fma_f64 v[112:113], s[24:25], v[198:199], v[112:113]
	v_add_f64 v[2:3], v[112:113], v[2:3]
	v_fma_f64 v[112:113], v[200:201], s[24:25], -v[114:115]
	v_add_f64 v[4:5], v[112:113], v[4:5]
	v_mul_f64 v[112:113], v[110:111], s[50:51]
	v_accvgpr_write_b32 a78, v114
	v_accvgpr_write_b32 a86, v112
	;; [unrolled: 1-line block ×3, first 2 shown]
	v_mul_f64 v[114:115], v[108:109], s[50:51]
	v_accvgpr_write_b32 a87, v113
	v_fma_f64 v[112:113], s[14:15], v[198:199], v[112:113]
	v_add_f64 v[14:15], v[112:113], v[14:15]
	v_fma_f64 v[112:113], v[200:201], s[14:15], -v[114:115]
	v_add_f64 v[16:17], v[112:113], v[16:17]
	v_mul_f64 v[112:113], v[110:111], s[46:47]
	v_accvgpr_write_b32 a98, v112
	v_mul_f64 v[222:223], v[108:109], s[46:47]
	v_accvgpr_write_b32 a99, v113
	v_fma_f64 v[112:113], s[0:1], v[198:199], v[112:113]
	v_add_f64 v[56:57], v[112:113], v[56:57]
	v_fma_f64 v[112:113], v[200:201], s[0:1], -v[222:223]
	v_mul_f64 v[224:225], v[110:111], s[36:37]
	v_add_f64 v[58:59], v[112:113], v[58:59]
	v_mul_f64 v[230:231], v[108:109], s[36:37]
	v_fma_f64 v[112:113], s[6:7], v[198:199], v[224:225]
	v_add_f64 v[6:7], v[112:113], v[6:7]
	v_fma_f64 v[112:113], v[200:201], s[6:7], -v[230:231]
	v_mul_f64 v[232:233], v[110:111], s[34:35]
	v_add_f64 v[8:9], v[112:113], v[8:9]
	v_mul_f64 v[236:237], v[108:109], s[34:35]
	v_fma_f64 v[112:113], s[22:23], v[198:199], v[232:233]
	v_add_f64 v[10:11], v[112:113], v[10:11]
	v_fma_f64 v[112:113], v[200:201], s[22:23], -v[236:237]
	s_mov_b32 s55, 0x3fe9895b
	s_mov_b32 s54, s28
	v_accvgpr_write_b32 a94, v114
	v_add_f64 v[12:13], v[112:113], v[12:13]
	v_mul_f64 v[112:113], v[110:111], s[54:55]
	v_accvgpr_write_b32 a95, v115
	v_fma_f64 v[114:115], v[198:199], s[18:19], -v[112:113]
	v_add_f64 v[18:19], v[114:115], v[18:19]
	v_mul_f64 v[114:115], v[108:109], s[54:55]
	v_fmac_f64_e32 v[112:113], s[18:19], v[198:199]
	v_add_f64 v[22:23], v[112:113], v[22:23]
	v_fma_f64 v[112:113], v[200:201], s[18:19], -v[114:115]
	v_mul_f64 v[110:111], v[110:111], s[44:45]
	v_add_f64 v[24:25], v[112:113], v[24:25]
	v_fma_f64 v[112:113], v[198:199], s[20:21], -v[110:111]
	v_mul_f64 v[108:109], v[108:109], s[44:45]
	v_fmac_f64_e32 v[110:111], s[20:21], v[198:199]
	v_add_f64 v[26:27], v[112:113], v[26:27]
	v_fma_f64 v[112:113], s[20:21], v[200:201], v[108:109]
	v_add_f64 v[30:31], v[110:111], v[30:31]
	v_add_f64 v[110:111], v[62:63], -v[90:91]
	v_add_f64 v[28:29], v[112:113], v[28:29]
	v_fma_f64 v[108:109], v[200:201], s[20:21], -v[108:109]
	v_mul_f64 v[112:113], v[110:111], s[26:27]
	v_add_f64 v[32:33], v[108:109], v[32:33]
	v_add_f64 v[226:227], v[60:61], v[88:89]
	v_add_f64 v[108:109], v[60:61], -v[88:89]
	v_accvgpr_write_b32 a92, v112
	v_add_f64 v[20:21], v[116:117], v[20:21]
	v_fma_f64 v[116:117], s[18:19], v[200:201], v[114:115]
	v_add_f64 v[228:229], v[62:63], v[90:91]
	v_mul_f64 v[114:115], v[108:109], s[26:27]
	v_accvgpr_write_b32 a93, v113
	v_fma_f64 v[112:113], s[14:15], v[226:227], v[112:113]
	v_add_f64 v[34:35], v[112:113], v[34:35]
	v_fma_f64 v[112:113], v[228:229], s[14:15], -v[114:115]
	v_add_f64 v[0:1], v[112:113], v[0:1]
	v_mul_f64 v[112:113], v[110:111], s[52:53]
	v_accvgpr_write_b32 a100, v112
	v_mul_f64 v[220:221], v[108:109], s[52:53]
	v_accvgpr_write_b32 a101, v113
	v_fma_f64 v[112:113], s[22:23], v[226:227], v[112:113]
	v_add_f64 v[2:3], v[112:113], v[2:3]
	v_fma_f64 v[112:113], v[228:229], s[22:23], -v[220:221]
	v_mul_f64 v[234:235], v[110:111], s[44:45]
	v_add_f64 v[4:5], v[112:113], v[4:5]
	v_mul_f64 v[240:241], v[108:109], s[44:45]
	v_fma_f64 v[112:113], s[20:21], v[226:227], v[234:235]
	v_add_f64 v[14:15], v[112:113], v[14:15]
	v_fma_f64 v[112:113], v[228:229], s[20:21], -v[240:241]
	v_mul_f64 v[244:245], v[110:111], s[36:37]
	v_add_f64 v[16:17], v[112:113], v[16:17]
	v_mul_f64 v[248:249], v[108:109], s[36:37]
	;; [unrolled: 6-line block ×3, first 2 shown]
	v_fma_f64 v[112:113], s[24:25], v[226:227], v[120:121]
	s_mov_b32 s37, 0x3fefdd0d
	s_mov_b32 s36, s42
	v_add_f64 v[6:7], v[112:113], v[6:7]
	v_fma_f64 v[112:113], v[228:229], s[24:25], -v[122:123]
	v_mul_f64 v[124:125], v[110:111], s[36:37]
	v_add_f64 v[8:9], v[112:113], v[8:9]
	v_mul_f64 v[128:129], v[108:109], s[36:37]
	v_fma_f64 v[112:113], s[16:17], v[226:227], v[124:125]
	v_add_f64 v[10:11], v[112:113], v[10:11]
	v_fma_f64 v[112:113], v[228:229], s[16:17], -v[128:129]
	v_accvgpr_write_b32 a96, v114
	v_add_f64 v[12:13], v[112:113], v[12:13]
	v_mul_f64 v[112:113], v[110:111], s[40:41]
	v_accvgpr_write_b32 a97, v115
	v_fma_f64 v[114:115], v[226:227], s[0:1], -v[112:113]
	v_add_f64 v[18:19], v[114:115], v[18:19]
	v_mul_f64 v[114:115], v[108:109], s[40:41]
	v_fmac_f64_e32 v[112:113], s[0:1], v[226:227]
	v_add_f64 v[22:23], v[112:113], v[22:23]
	v_fma_f64 v[112:113], v[228:229], s[0:1], -v[114:115]
	v_mul_f64 v[110:111], v[110:111], s[28:29]
	v_add_f64 v[24:25], v[112:113], v[24:25]
	v_fma_f64 v[112:113], v[226:227], s[18:19], -v[110:111]
	v_mul_f64 v[108:109], v[108:109], s[28:29]
	v_add_f64 v[136:137], v[66:67], -v[86:87]
	v_add_f64 v[26:27], v[112:113], v[26:27]
	v_fma_f64 v[112:113], s[18:19], v[228:229], v[108:109]
	v_fma_f64 v[108:109], v[228:229], s[18:19], -v[108:109]
	v_add_f64 v[252:253], v[64:65], v[84:85]
	v_add_f64 v[134:135], v[64:65], -v[84:85]
	v_mul_f64 v[238:239], v[136:137], s[28:29]
	v_add_f64 v[32:33], v[108:109], v[32:33]
	v_add_f64 v[254:255], v[66:67], v[86:87]
	v_mul_f64 v[242:243], v[134:135], s[28:29]
	v_fma_f64 v[108:109], s[18:19], v[252:253], v[238:239]
	v_add_f64 v[34:35], v[108:109], v[34:35]
	v_fma_f64 v[108:109], v[254:255], s[18:19], -v[242:243]
	v_mul_f64 v[246:247], v[136:137], s[50:51]
	v_add_f64 v[0:1], v[108:109], v[0:1]
	v_mul_f64 v[250:251], v[134:135], s[50:51]
	v_fma_f64 v[108:109], s[14:15], v[252:253], v[246:247]
	v_add_f64 v[2:3], v[108:109], v[2:3]
	v_fma_f64 v[108:109], v[254:255], s[14:15], -v[250:251]
	v_mul_f64 v[126:127], v[136:137], s[40:41]
	v_add_f64 v[20:21], v[116:117], v[20:21]
	v_fma_f64 v[116:117], s[0:1], v[228:229], v[114:115]
	v_add_f64 v[4:5], v[108:109], v[4:5]
	v_mul_f64 v[138:139], v[134:135], s[40:41]
	v_fma_f64 v[108:109], s[0:1], v[252:253], v[126:127]
	v_add_f64 v[20:21], v[116:117], v[20:21]
	v_add_f64 v[14:15], v[108:109], v[14:15]
	v_fma_f64 v[108:109], v[254:255], s[0:1], -v[138:139]
	v_mul_f64 v[116:117], v[136:137], s[34:35]
	v_add_f64 v[16:17], v[108:109], v[16:17]
	v_mul_f64 v[118:119], v[134:135], s[34:35]
	v_fma_f64 v[108:109], s[22:23], v[252:253], v[116:117]
	v_add_f64 v[28:29], v[112:113], v[28:29]
	v_add_f64 v[56:57], v[108:109], v[56:57]
	v_fma_f64 v[108:109], v[254:255], s[22:23], -v[118:119]
	v_mul_f64 v[112:113], v[136:137], s[36:37]
	v_add_f64 v[58:59], v[108:109], v[58:59]
	v_mul_f64 v[114:115], v[134:135], s[36:37]
	v_fma_f64 v[108:109], s[16:17], v[252:253], v[112:113]
	v_add_f64 v[6:7], v[108:109], v[6:7]
	v_fma_f64 v[108:109], v[254:255], s[16:17], -v[114:115]
	v_fmac_f64_e32 v[110:111], s[18:19], v[226:227]
	v_add_f64 v[154:155], v[108:109], v[8:9]
	v_mul_f64 v[108:109], v[136:137], s[48:49]
	v_add_f64 v[30:31], v[110:111], v[30:31]
	v_mul_f64 v[110:111], v[134:135], s[48:49]
	v_fma_f64 v[8:9], s[20:21], v[252:253], v[108:109]
	v_add_f64 v[156:157], v[8:9], v[10:11]
	v_fma_f64 v[8:9], v[254:255], s[20:21], -v[110:111]
	v_add_f64 v[162:163], v[8:9], v[12:13]
	v_mul_f64 v[8:9], v[136:137], s[38:39]
	v_fma_f64 v[10:11], v[252:253], s[24:25], -v[8:9]
	v_add_f64 v[164:165], v[10:11], v[18:19]
	v_mul_f64 v[10:11], v[134:135], s[38:39]
	v_fmac_f64_e32 v[8:9], s[24:25], v[252:253]
	v_add_f64 v[180:181], v[8:9], v[22:23]
	v_fma_f64 v[8:9], v[254:255], s[24:25], -v[10:11]
	v_add_f64 v[188:189], v[8:9], v[24:25]
	v_mul_f64 v[8:9], v[136:137], s[30:31]
	v_fma_f64 v[12:13], s[24:25], v[254:255], v[10:11]
	v_fma_f64 v[10:11], v[252:253], s[6:7], -v[8:9]
	v_add_f64 v[190:191], v[10:11], v[26:27]
	v_mul_f64 v[10:11], v[134:135], s[30:31]
	v_fmac_f64_e32 v[8:9], s[6:7], v[252:253]
	v_add_f64 v[194:195], v[8:9], v[30:31]
	v_fma_f64 v[8:9], v[254:255], s[6:7], -v[10:11]
	v_add_f64 v[196:197], v[8:9], v[32:33]
	v_add_f64 v[32:33], v[70:71], -v[82:83]
	v_add_f64 v[146:147], v[68:69], v[80:81]
	v_add_f64 v[202:203], v[68:69], -v[80:81]
	v_mul_f64 v[134:135], v[32:33], s[34:35]
	v_add_f64 v[150:151], v[70:71], v[82:83]
	v_mul_f64 v[136:137], v[202:203], s[34:35]
	v_fma_f64 v[8:9], s[22:23], v[146:147], v[134:135]
	v_add_f64 v[204:205], v[8:9], v[34:35]
	v_fma_f64 v[8:9], v[150:151], s[22:23], -v[136:137]
	v_mul_f64 v[140:141], v[32:33], s[30:31]
	v_add_f64 v[206:207], v[8:9], v[0:1]
	v_mul_f64 v[142:143], v[202:203], s[30:31]
	v_fma_f64 v[0:1], s[6:7], v[146:147], v[140:141]
	v_add_f64 v[208:209], v[0:1], v[2:3]
	v_fma_f64 v[0:1], v[150:151], s[6:7], -v[142:143]
	;; [unrolled: 6-line block ×3, first 2 shown]
	v_mul_f64 v[160:161], v[32:33], s[54:55]
	v_add_f64 v[176:177], v[12:13], v[20:21]
	v_fma_f64 v[12:13], s[6:7], v[254:255], v[10:11]
	v_add_f64 v[10:11], v[0:1], v[16:17]
	v_mul_f64 v[166:167], v[202:203], s[54:55]
	v_fma_f64 v[0:1], s[18:19], v[146:147], v[160:161]
	v_add_f64 v[192:193], v[12:13], v[28:29]
	v_add_f64 v[12:13], v[0:1], v[56:57]
	v_fma_f64 v[0:1], v[150:151], s[18:19], -v[166:167]
	v_mul_f64 v[178:179], v[32:33], s[40:41]
	v_add_f64 v[14:15], v[0:1], v[58:59]
	v_mul_f64 v[182:183], v[202:203], s[40:41]
	v_fma_f64 v[0:1], s[0:1], v[146:147], v[178:179]
	v_add_f64 v[16:17], v[0:1], v[6:7]
	v_fma_f64 v[0:1], v[150:151], s[0:1], -v[182:183]
	v_mul_f64 v[184:185], v[32:33], s[38:39]
	v_add_f64 v[18:19], v[0:1], v[154:155]
	v_mul_f64 v[186:187], v[202:203], s[38:39]
	v_fma_f64 v[0:1], s[24:25], v[146:147], v[184:185]
	v_add_f64 v[20:21], v[0:1], v[156:157]
	v_fma_f64 v[0:1], v[150:151], s[24:25], -v[186:187]
	v_add_f64 v[22:23], v[0:1], v[162:163]
	v_mul_f64 v[0:1], v[32:33], s[44:45]
	v_fma_f64 v[2:3], v[146:147], s[20:21], -v[0:1]
	v_add_f64 v[24:25], v[2:3], v[164:165]
	v_mul_f64 v[2:3], v[202:203], s[44:45]
	v_fmac_f64_e32 v[0:1], s[20:21], v[146:147]
	v_add_f64 v[28:29], v[0:1], v[180:181]
	v_fma_f64 v[0:1], v[150:151], s[20:21], -v[2:3]
	v_add_f64 v[30:31], v[0:1], v[188:189]
	v_mul_f64 v[0:1], v[32:33], s[26:27]
	v_fma_f64 v[4:5], s[20:21], v[150:151], v[2:3]
	v_fma_f64 v[2:3], v[146:147], s[14:15], -v[0:1]
	v_add_f64 v[32:33], v[2:3], v[190:191]
	v_mul_f64 v[2:3], v[202:203], s[26:27]
	v_fmac_f64_e32 v[0:1], s[14:15], v[146:147]
	v_add_f64 v[216:217], v[0:1], v[194:195]
	v_fma_f64 v[0:1], v[150:151], s[14:15], -v[2:3]
	v_add_f64 v[218:219], v[0:1], v[196:197]
	v_add_f64 v[196:197], v[72:73], -v[76:77]
	v_add_f64 v[164:165], v[74:75], v[78:79]
	v_add_f64 v[202:203], v[74:75], -v[78:79]
	v_mul_f64 v[156:157], v[196:197], s[38:39]
	v_add_f64 v[26:27], v[4:5], v[176:177]
	v_fma_f64 v[4:5], s[14:15], v[150:151], v[2:3]
	v_add_f64 v[162:163], v[72:73], v[76:77]
	v_mul_f64 v[154:155], v[202:203], s[38:39]
	v_fma_f64 v[2:3], v[164:165], s[24:25], -v[156:157]
	v_fma_f64 v[0:1], s[24:25], v[162:163], v[154:155]
	v_add_f64 v[2:3], v[2:3], v[206:207]
	v_mul_f64 v[180:181], v[196:197], s[46:47]
	v_mul_f64 v[188:189], v[202:203], s[34:35]
	v_add_f64 v[34:35], v[4:5], v[192:193]
	v_add_f64 v[0:1], v[0:1], v[204:205]
	v_accvgpr_write_b32 a5, v3
	v_fma_f64 v[6:7], v[164:165], s[0:1], -v[180:181]
	v_mul_f64 v[190:191], v[196:197], s[34:35]
	v_fma_f64 v[192:193], s[22:23], v[162:163], v[188:189]
	v_accvgpr_write_b32 a4, v2
	v_accvgpr_write_b32 a3, v1
	;; [unrolled: 1-line block ×3, first 2 shown]
	v_add_f64 v[2:3], v[6:7], v[210:211]
	v_add_f64 v[6:7], v[192:193], v[8:9]
	v_fma_f64 v[192:193], v[164:165], s[22:23], -v[190:191]
	v_add_f64 v[8:9], v[192:193], v[10:11]
	v_mul_f64 v[192:193], v[202:203], s[44:45]
	v_mul_f64 v[194:195], v[196:197], s[44:45]
	v_fma_f64 v[204:205], s[20:21], v[162:163], v[192:193]
	v_mul_f64 v[176:177], v[202:203], s[46:47]
	v_add_f64 v[10:11], v[204:205], v[12:13]
	v_fma_f64 v[204:205], v[164:165], s[20:21], -v[194:195]
	v_fma_f64 v[4:5], s[0:1], v[162:163], v[176:177]
	v_add_f64 v[12:13], v[204:205], v[14:15]
	v_mul_f64 v[204:205], v[202:203], s[28:29]
	v_add_f64 v[0:1], v[4:5], v[208:209]
	v_mul_f64 v[206:207], v[196:197], s[28:29]
	v_fma_f64 v[208:209], s[18:19], v[162:163], v[204:205]
	v_add_f64 v[14:15], v[208:209], v[16:17]
	v_fma_f64 v[208:209], v[164:165], s[18:19], -v[206:207]
	v_add_f64 v[16:17], v[208:209], v[18:19]
	v_mul_f64 v[208:209], v[202:203], s[30:31]
	v_mul_f64 v[210:211], v[196:197], s[30:31]
	v_fma_f64 v[212:213], s[6:7], v[162:163], v[208:209]
	v_add_f64 v[18:19], v[212:213], v[20:21]
	v_fma_f64 v[212:213], v[164:165], s[6:7], -v[210:211]
	v_add_f64 v[20:21], v[212:213], v[22:23]
	v_mul_f64 v[212:213], v[202:203], s[26:27]
	v_fma_f64 v[214:215], v[162:163], s[14:15], -v[212:213]
	v_add_f64 v[56:57], v[214:215], v[24:25]
	v_mul_f64 v[214:215], v[196:197], s[26:27]
	v_fma_f64 v[170:171], s[14:15], v[164:165], v[214:215]
	v_add_f64 v[58:59], v[170:171], v[26:27]
	v_fmac_f64_e32 v[212:213], s[14:15], v[162:163]
	v_fma_f64 v[170:171], v[164:165], s[14:15], -v[214:215]
	v_add_f64 v[26:27], v[212:213], v[28:29]
	v_add_f64 v[28:29], v[170:171], v[30:31]
	v_mul_f64 v[170:171], v[202:203], s[36:37]
	v_fma_f64 v[202:203], v[162:163], s[16:17], -v[170:171]
	v_mul_f64 v[196:197], v[196:197], s[36:37]
	v_fmac_f64_e32 v[170:171], s[16:17], v[162:163]
	v_accvgpr_write_b32 a9, v3
	v_add_f64 v[32:33], v[202:203], v[32:33]
	v_fma_f64 v[202:203], s[16:17], v[164:165], v[196:197]
	v_add_f64 v[22:23], v[170:171], v[216:217]
	v_fma_f64 v[170:171], v[164:165], s[16:17], -v[196:197]
	v_accvgpr_write_b32 a8, v2
	v_accvgpr_write_b32 a7, v1
	;; [unrolled: 1-line block ×3, first 2 shown]
	v_add_f64 v[34:35], v[202:203], v[34:35]
	v_add_f64 v[24:25], v[170:171], v[218:219]
	v_mul_lo_u16_e32 v30, 17, v169
	s_barrier
	s_and_saveexec_b64 s[26:27], s[2:3]
	s_cbranch_execz .LBB0_7
; %bb.6:
	v_accvgpr_read_b32 v0, a90
	v_mul_f64 v[202:203], v[174:175], s[0:1]
	v_accvgpr_read_b32 v1, a91
	v_mul_f64 v[170:171], v[164:165], s[6:7]
	v_add_f64 v[202:203], v[0:1], v[202:203]
	v_accvgpr_read_b32 v0, a66
	v_add_f64 v[170:171], v[210:211], v[170:171]
	v_mul_f64 v[210:211], v[148:149], s[14:15]
	v_accvgpr_read_b32 v1, a67
	v_add_f64 v[210:211], v[0:1], v[210:211]
	v_accvgpr_read_b32 v0, a40
	v_mul_f64 v[196:197], v[150:151], s[24:25]
	v_mul_f64 v[212:213], v[132:133], s[18:19]
	v_accvgpr_read_b32 v1, a41
	v_add_f64 v[186:187], v[186:187], v[196:197]
	v_mul_f64 v[196:197], v[254:255], s[20:21]
	v_add_f64 v[212:213], v[0:1], v[212:213]
	v_add_f64 v[110:111], v[110:111], v[196:197]
	v_mul_f64 v[196:197], v[228:229], s[16:17]
	v_add_f64 v[212:213], v[38:39], v[212:213]
	;; [unrolled: 3-line block ×3, first 2 shown]
	v_add_f64 v[196:197], v[236:237], v[196:197]
	v_add_f64 v[202:203], v[202:203], v[210:211]
	;; [unrolled: 1-line block ×3, first 2 shown]
	v_accvgpr_read_b32 v0, a88
	v_add_f64 v[128:129], v[128:129], v[196:197]
	v_mul_f64 v[196:197], v[172:173], s[0:1]
	v_accvgpr_read_b32 v1, a89
	v_add_f64 v[196:197], v[196:197], -v[0:1]
	v_accvgpr_read_b32 v0, a64
	v_mul_f64 v[202:203], v[144:145], s[14:15]
	v_accvgpr_read_b32 v1, a65
	v_add_f64 v[110:111], v[110:111], v[128:129]
	v_mul_f64 v[128:129], v[162:163], s[6:7]
	v_add_f64 v[202:203], v[202:203], -v[0:1]
	v_accvgpr_read_b32 v0, a38
	v_add_f64 v[110:111], v[186:187], v[110:111]
	v_add_f64 v[128:129], v[128:129], -v[208:209]
	v_mul_f64 v[186:187], v[146:147], s[24:25]
	v_mul_f64 v[208:209], v[130:131], s[18:19]
	v_accvgpr_read_b32 v1, a39
	v_add_f64 v[184:185], v[186:187], -v[184:185]
	v_mul_f64 v[186:187], v[252:253], s[20:21]
	v_add_f64 v[208:209], v[208:209], -v[0:1]
	v_add_f64 v[108:109], v[186:187], -v[108:109]
	v_mul_f64 v[186:187], v[226:227], s[16:17]
	v_add_f64 v[208:209], v[36:37], v[208:209]
	v_add_f64 v[124:125], v[186:187], -v[124:125]
	v_mul_f64 v[186:187], v[198:199], s[22:23]
	v_add_f64 v[202:203], v[202:203], v[208:209]
	v_add_f64 v[186:187], v[186:187], -v[232:233]
	v_add_f64 v[196:197], v[196:197], v[202:203]
	v_add_f64 v[186:187], v[186:187], v[196:197]
	;; [unrolled: 1-line block ×6, first 2 shown]
	v_mul_f64 v[128:129], v[150:151], s[0:1]
	v_accvgpr_read_b32 v0, a84
	v_add_f64 v[128:129], v[182:183], v[128:129]
	v_mul_f64 v[182:183], v[174:175], s[20:21]
	v_accvgpr_read_b32 v1, a85
	v_add_f64 v[182:183], v[0:1], v[182:183]
	v_accvgpr_read_b32 v0, a60
	v_mul_f64 v[184:185], v[148:149], s[22:23]
	v_accvgpr_read_b32 v1, a61
	v_add_f64 v[184:185], v[0:1], v[184:185]
	v_accvgpr_read_b32 v0, a36
	v_mul_f64 v[186:187], v[132:133], s[14:15]
	v_accvgpr_read_b32 v1, a37
	v_add_f64 v[110:111], v[170:171], v[110:111]
	v_mul_f64 v[170:171], v[254:255], s[16:17]
	v_add_f64 v[186:187], v[0:1], v[186:187]
	v_add_f64 v[114:115], v[114:115], v[170:171]
	v_mul_f64 v[170:171], v[228:229], s[24:25]
	v_add_f64 v[186:187], v[38:39], v[186:187]
	;; [unrolled: 3-line block ×3, first 2 shown]
	v_add_f64 v[170:171], v[230:231], v[170:171]
	v_add_f64 v[182:183], v[182:183], v[184:185]
	;; [unrolled: 1-line block ×6, first 2 shown]
	v_mul_f64 v[128:129], v[146:147], s[0:1]
	v_accvgpr_read_b32 v0, a82
	v_add_f64 v[128:129], v[128:129], -v[178:179]
	v_mul_f64 v[178:179], v[172:173], s[20:21]
	v_accvgpr_read_b32 v1, a83
	v_add_f64 v[178:179], v[178:179], -v[0:1]
	v_accvgpr_read_b32 v0, a58
	v_mul_f64 v[182:183], v[144:145], s[22:23]
	v_accvgpr_read_b32 v1, a59
	v_add_f64 v[182:183], v[182:183], -v[0:1]
	v_accvgpr_read_b32 v0, a30
	v_mul_f64 v[184:185], v[130:131], s[14:15]
	v_accvgpr_read_b32 v1, a31
	v_mul_f64 v[170:171], v[252:253], s[16:17]
	v_add_f64 v[184:185], v[184:185], -v[0:1]
	v_add_f64 v[112:113], v[170:171], -v[112:113]
	v_mul_f64 v[170:171], v[226:227], s[24:25]
	v_add_f64 v[184:185], v[36:37], v[184:185]
	v_add_f64 v[120:121], v[170:171], -v[120:121]
	v_mul_f64 v[170:171], v[198:199], s[6:7]
	v_add_f64 v[182:183], v[182:183], v[184:185]
	v_add_f64 v[170:171], v[170:171], -v[224:225]
	v_add_f64 v[178:179], v[178:179], v[182:183]
	v_add_f64 v[170:171], v[170:171], v[178:179]
	;; [unrolled: 1-line block ×3, first 2 shown]
	v_mul_f64 v[122:123], v[162:163], s[18:19]
	v_add_f64 v[112:113], v[112:113], v[120:121]
	v_add_f64 v[122:123], v[122:123], -v[204:205]
	v_add_f64 v[112:113], v[128:129], v[112:113]
	v_add_f64 v[112:113], v[122:123], v[112:113]
	v_mul_f64 v[122:123], v[150:151], s[18:19]
	v_accvgpr_read_b32 v0, a80
	v_add_f64 v[122:123], v[166:167], v[122:123]
	v_mul_f64 v[166:167], v[174:175], s[14:15]
	v_accvgpr_read_b32 v1, a81
	v_add_f64 v[166:167], v[0:1], v[166:167]
	v_accvgpr_read_b32 v0, a54
	v_mul_f64 v[170:171], v[148:149], s[24:25]
	v_accvgpr_read_b32 v1, a55
	v_add_f64 v[170:171], v[0:1], v[170:171]
	v_accvgpr_read_b32 v0, a26
	v_mul_f64 v[178:179], v[132:133], s[16:17]
	v_accvgpr_read_b32 v1, a27
	v_mul_f64 v[124:125], v[164:165], s[18:19]
	v_add_f64 v[178:179], v[0:1], v[178:179]
	v_add_f64 v[124:125], v[206:207], v[124:125]
	;; [unrolled: 1-line block ×4, first 2 shown]
	v_mul_f64 v[124:125], v[254:255], s[22:23]
	v_mul_f64 v[128:129], v[200:201], s[0:1]
	v_add_f64 v[170:171], v[170:171], v[178:179]
	v_add_f64 v[118:119], v[118:119], v[124:125]
	v_mul_f64 v[124:125], v[228:229], s[6:7]
	v_add_f64 v[128:129], v[222:223], v[128:129]
	v_add_f64 v[166:167], v[166:167], v[170:171]
	;; [unrolled: 1-line block ×6, first 2 shown]
	v_mul_f64 v[124:125], v[146:147], s[18:19]
	v_accvgpr_read_b32 v0, a98
	v_add_f64 v[124:125], v[124:125], -v[160:161]
	v_mul_f64 v[160:161], v[198:199], s[0:1]
	v_accvgpr_read_b32 v1, a99
	v_add_f64 v[160:161], v[160:161], -v[0:1]
	v_accvgpr_read_b32 v0, a74
	v_mul_f64 v[166:167], v[172:173], s[14:15]
	v_accvgpr_read_b32 v1, a75
	v_add_f64 v[166:167], v[166:167], -v[0:1]
	v_accvgpr_read_b32 v0, a50
	;; [unrolled: 4-line block ×3, first 2 shown]
	v_mul_f64 v[178:179], v[130:131], s[16:17]
	v_accvgpr_read_b32 v1, a23
	v_add_f64 v[178:179], v[178:179], -v[0:1]
	v_add_f64 v[178:179], v[36:37], v[178:179]
	v_mul_f64 v[128:129], v[252:253], s[22:23]
	v_add_f64 v[170:171], v[170:171], v[178:179]
	v_add_f64 v[116:117], v[128:129], -v[116:117]
	v_mul_f64 v[128:129], v[226:227], s[6:7]
	v_add_f64 v[166:167], v[166:167], v[170:171]
	v_add_f64 v[128:129], v[128:129], -v[244:245]
	v_add_f64 v[160:161], v[160:161], v[166:167]
	v_add_f64 v[128:129], v[128:129], v[160:161]
	;; [unrolled: 1-line block ×4, first 2 shown]
	v_mul_f64 v[122:123], v[162:163], s[20:21]
	v_add_f64 v[116:117], v[124:125], v[116:117]
	v_mul_f64 v[124:125], v[254:255], s[0:1]
	v_accvgpr_read_b32 v0, a94
	v_add_f64 v[122:123], v[122:123], -v[192:193]
	v_add_f64 v[124:125], v[138:139], v[124:125]
	v_mul_f64 v[138:139], v[200:201], s[14:15]
	v_accvgpr_read_b32 v1, a95
	v_add_f64 v[116:117], v[122:123], v[116:117]
	v_mul_f64 v[122:123], v[150:151], s[16:17]
	v_add_f64 v[138:139], v[0:1], v[138:139]
	v_accvgpr_read_b32 v0, a70
	v_add_f64 v[122:123], v[158:159], v[122:123]
	v_mul_f64 v[158:159], v[174:175], s[24:25]
	v_accvgpr_read_b32 v1, a71
	v_add_f64 v[158:159], v[0:1], v[158:159]
	v_accvgpr_read_b32 v0, a44
	v_mul_f64 v[160:161], v[148:149], s[18:19]
	v_accvgpr_read_b32 v1, a45
	v_add_f64 v[160:161], v[0:1], v[160:161]
	v_accvgpr_read_b32 v0, a20
	v_mul_f64 v[166:167], v[132:133], s[6:7]
	v_accvgpr_read_b32 v1, a21
	v_add_f64 v[166:167], v[0:1], v[166:167]
	v_add_f64 v[166:167], v[38:39], v[166:167]
	v_accvgpr_read_b32 v0, a86
	v_add_f64 v[160:161], v[160:161], v[166:167]
	v_mul_f64 v[182:183], v[198:199], s[14:15]
	v_accvgpr_read_b32 v1, a87
	v_mul_f64 v[128:129], v[228:229], s[20:21]
	v_add_f64 v[158:159], v[158:159], v[160:161]
	v_add_f64 v[182:183], v[182:183], -v[0:1]
	v_accvgpr_read_b32 v0, a62
	v_add_f64 v[128:129], v[240:241], v[128:129]
	v_add_f64 v[138:139], v[138:139], v[158:159]
	v_mul_f64 v[184:185], v[172:173], s[24:25]
	v_accvgpr_read_b32 v1, a63
	v_add_f64 v[128:129], v[128:129], v[138:139]
	v_add_f64 v[184:185], v[184:185], -v[0:1]
	v_accvgpr_read_b32 v0, a42
	v_mul_f64 v[158:159], v[144:145], s[20:21]
	v_add_f64 v[124:125], v[124:125], v[128:129]
	v_mul_f64 v[128:129], v[144:145], s[16:17]
	v_mul_f64 v[144:145], v[144:145], s[18:19]
	v_accvgpr_read_b32 v1, a43
	v_add_f64 v[144:145], v[144:145], -v[0:1]
	v_accvgpr_read_b32 v0, a18
	v_mul_f64 v[170:171], v[130:131], s[0:1]
	v_mul_f64 v[160:161], v[130:131], s[20:21]
	;; [unrolled: 1-line block ×3, first 2 shown]
	v_accvgpr_read_b32 v1, a19
	v_mul_f64 v[120:121], v[164:165], s[20:21]
	v_add_f64 v[130:131], v[130:131], -v[0:1]
	v_accvgpr_read_b32 v0, a78
	v_add_f64 v[120:121], v[194:195], v[120:121]
	v_mul_f64 v[194:195], v[200:201], s[24:25]
	v_accvgpr_read_b32 v1, a79
	v_add_f64 v[122:123], v[122:123], v[124:125]
	v_mul_f64 v[124:125], v[162:163], s[22:23]
	v_add_f64 v[194:195], v[0:1], v[194:195]
	v_accvgpr_read_b32 v0, a56
	v_add_f64 v[124:125], v[124:125], -v[188:189]
	v_mul_f64 v[188:189], v[174:175], s[6:7]
	v_mul_f64 v[174:175], v[174:175], s[18:19]
	v_accvgpr_read_b32 v1, a57
	v_mul_f64 v[178:179], v[146:147], s[16:17]
	v_add_f64 v[130:131], v[36:37], v[130:131]
	v_add_f64 v[174:175], v[0:1], v[174:175]
	v_accvgpr_read_b32 v0, a34
	v_mul_f64 v[138:139], v[148:149], s[20:21]
	v_mul_f64 v[148:149], v[148:149], s[16:17]
	v_add_f64 v[152:153], v[178:179], -v[152:153]
	v_mul_f64 v[178:179], v[252:253], s[0:1]
	v_add_f64 v[130:131], v[144:145], v[130:131]
	v_accvgpr_read_b32 v1, a35
	v_add_f64 v[126:127], v[178:179], -v[126:127]
	v_mul_f64 v[178:179], v[226:227], s[20:21]
	v_add_f64 v[130:131], v[184:185], v[130:131]
	v_add_f64 v[148:149], v[0:1], v[148:149]
	v_accvgpr_read_b32 v0, a16
	v_mul_f64 v[166:167], v[132:133], s[0:1]
	v_mul_f64 v[132:133], v[132:133], s[20:21]
	v_add_f64 v[178:179], v[178:179], -v[234:235]
	v_add_f64 v[130:131], v[182:183], v[130:131]
	v_accvgpr_read_b32 v1, a17
	v_add_f64 v[130:131], v[178:179], v[130:131]
	v_add_f64 v[132:133], v[0:1], v[132:133]
	;; [unrolled: 1-line block ×3, first 2 shown]
	v_mul_f64 v[120:121], v[164:165], s[22:23]
	v_add_f64 v[126:127], v[126:127], v[130:131]
	v_add_f64 v[132:133], v[38:39], v[132:133]
	;; [unrolled: 1-line block ×5, first 2 shown]
	v_mul_f64 v[190:191], v[198:199], s[16:17]
	v_mul_f64 v[192:193], v[198:199], s[24:25]
	;; [unrolled: 1-line block ×4, first 2 shown]
	v_add_f64 v[122:123], v[120:121], v[122:123]
	v_add_f64 v[120:121], v[124:125], v[126:127]
	v_mul_f64 v[124:125], v[146:147], s[6:7]
	v_mul_f64 v[146:147], v[164:165], s[0:1]
	v_add_f64 v[132:133], v[174:175], v[132:133]
	v_mul_f64 v[202:203], v[254:255], s[14:15]
	v_mul_f64 v[126:127], v[150:151], s[6:7]
	v_add_f64 v[146:147], v[180:181], v[146:147]
	v_add_f64 v[180:181], v[220:221], v[198:199]
	;; [unrolled: 1-line block ×3, first 2 shown]
	v_accvgpr_read_b32 v0, a100
	v_mul_f64 v[196:197], v[226:227], s[22:23]
	v_add_f64 v[126:127], v[142:143], v[126:127]
	v_add_f64 v[142:143], v[250:251], v[202:203]
	;; [unrolled: 1-line block ×3, first 2 shown]
	v_accvgpr_read_b32 v1, a101
	v_add_f64 v[132:133], v[142:143], v[132:133]
	v_add_f64 v[142:143], v[196:197], -v[0:1]
	v_accvgpr_read_b32 v0, a76
	v_add_f64 v[126:127], v[126:127], v[132:133]
	v_accvgpr_read_b32 v1, a77
	v_add_f64 v[126:127], v[146:147], v[126:127]
	v_add_f64 v[146:147], v[192:193], -v[0:1]
	v_accvgpr_read_b32 v0, a52
	v_mul_f64 v[186:187], v[172:173], s[6:7]
	v_mul_f64 v[172:173], v[172:173], s[18:19]
	v_accvgpr_read_b32 v1, a53
	v_add_f64 v[148:149], v[172:173], -v[0:1]
	v_accvgpr_read_b32 v0, a32
	v_accvgpr_read_b32 v1, a33
	v_add_f64 v[128:129], v[128:129], -v[0:1]
	v_accvgpr_read_b32 v0, a14
	v_accvgpr_read_b32 v1, a15
	v_add_f64 v[160:161], v[160:161], -v[0:1]
	v_add_f64 v[160:161], v[36:37], v[160:161]
	v_add_f64 v[128:129], v[128:129], v[160:161]
	;; [unrolled: 1-line block ×3, first 2 shown]
	v_mul_f64 v[144:145], v[200:201], s[16:17]
	v_mul_f64 v[200:201], v[252:253], s[14:15]
	v_add_f64 v[128:129], v[146:147], v[128:129]
	v_add_f64 v[124:125], v[124:125], -v[140:141]
	v_add_f64 v[140:141], v[200:201], -v[246:247]
	v_add_f64 v[128:129], v[142:143], v[128:129]
	v_mul_f64 v[204:205], v[150:151], s[22:23]
	v_mul_f64 v[150:151], v[162:163], s[24:25]
	v_mul_f64 v[162:163], v[162:163], s[0:1]
	v_add_f64 v[128:129], v[140:141], v[128:129]
	v_accvgpr_read_b32 v0, a96
	v_mul_f64 v[182:183], v[228:229], s[14:15]
	v_add_f64 v[132:133], v[162:163], -v[176:177]
	v_add_f64 v[124:125], v[124:125], v[128:129]
	v_accvgpr_read_b32 v1, a97
	v_add_f64 v[124:125], v[132:133], v[124:125]
	v_add_f64 v[132:133], v[136:137], v[204:205]
	;; [unrolled: 1-line block ×3, first 2 shown]
	v_accvgpr_read_b32 v0, a72
	v_accvgpr_read_b32 v1, a73
	v_add_f64 v[140:141], v[0:1], v[144:145]
	v_accvgpr_read_b32 v0, a48
	v_accvgpr_read_b32 v1, a49
	v_add_f64 v[142:143], v[0:1], v[188:189]
	;; [unrolled: 3-line block ×4, first 2 shown]
	v_add_f64 v[144:145], v[38:39], v[144:145]
	v_add_f64 v[138:139], v[138:139], v[144:145]
	;; [unrolled: 1-line block ×3, first 2 shown]
	v_mul_f64 v[130:131], v[254:255], s[18:19]
	v_add_f64 v[138:139], v[140:141], v[138:139]
	v_accvgpr_read_b32 v0, a92
	v_mul_f64 v[184:185], v[226:227], s[14:15]
	v_add_f64 v[130:131], v[242:243], v[130:131]
	v_add_f64 v[136:137], v[136:137], v[138:139]
	v_accvgpr_read_b32 v1, a93
	v_add_f64 v[130:131], v[130:131], v[136:137]
	v_add_f64 v[136:137], v[184:185], -v[0:1]
	v_accvgpr_read_b32 v0, a68
	v_accvgpr_read_b32 v1, a69
	v_add_f64 v[138:139], v[190:191], -v[0:1]
	v_accvgpr_read_b32 v0, a46
	v_accvgpr_read_b32 v1, a47
	;; [unrolled: 3-line block ×4, first 2 shown]
	v_add_f64 v[144:145], v[170:171], -v[0:1]
	v_add_f64 v[144:145], v[36:37], v[144:145]
	v_add_f64 v[38:39], v[38:39], v[42:43]
	;; [unrolled: 1-line block ×27, first 2 shown]
	v_mul_f64 v[178:179], v[252:253], s[18:19]
	v_add_f64 v[138:139], v[138:139], v[140:141]
	v_add_f64 v[38:39], v[38:39], v[94:95]
	;; [unrolled: 1-line block ×3, first 2 shown]
	v_mul_f64 v[164:165], v[164:165], s[24:25]
	v_add_f64 v[130:131], v[132:133], v[130:131]
	v_add_f64 v[132:133], v[152:153], -v[134:135]
	v_add_f64 v[134:135], v[178:179], -v[238:239]
	v_add_f64 v[136:137], v[136:137], v[138:139]
	v_add_f64 v[38:39], v[38:39], v[98:99]
	;; [unrolled: 1-line block ×8, first 2 shown]
	v_add_f64 v[128:129], v[150:151], -v[154:155]
	v_add_f64 v[132:133], v[132:133], v[134:135]
	v_add_f64 v[38:39], v[38:39], v[106:107]
	;; [unrolled: 1-line block ×3, first 2 shown]
	v_lshlrev_b32_e32 v0, 4, v30
	v_add_f64 v[128:129], v[128:129], v[132:133]
	ds_write_b128 v0, v[36:39]
	ds_write_b128 v0, v[128:131] offset:16
	ds_write_b128 v0, v[124:127] offset:32
	;; [unrolled: 1-line block ×16, first 2 shown]
.LBB0_7:
	s_or_b64 exec, exec, s[26:27]
	s_movk_i32 s0, 0xf1
	v_mul_lo_u16_sdwa v0, v169, s0 dst_sel:DWORD dst_unused:UNUSED_PAD src0_sel:BYTE_0 src1_sel:DWORD
	v_lshrrev_b16_e32 v0, 12, v0
	v_mul_lo_u16_e32 v1, 17, v0
	v_sub_u16_e32 v1, v169, v1
	v_and_b32_e32 v1, 0xff, v1
	v_mul_u32_u24_e32 v2, 6, v1
	v_lshlrev_b32_e32 v2, 4, v2
	s_load_dwordx4 s[4:7], s[4:5], 0x0
	s_waitcnt lgkmcnt(0)
	s_barrier
	global_load_dwordx4 v[48:51], v2, s[10:11]
	global_load_dwordx4 v[44:47], v2, s[10:11] offset:16
	global_load_dwordx4 v[40:43], v2, s[10:11] offset:32
	global_load_dwordx4 v[36:39], v2, s[10:11] offset:48
	global_load_dwordx4 v[60:63], v2, s[10:11] offset:64
	global_load_dwordx4 v[52:55], v2, s[10:11] offset:80
	ds_read_b128 v[64:67], v168
	ds_read_b128 v[68:71], v168 offset:1904
	ds_read_b128 v[72:75], v168 offset:3808
	;; [unrolled: 1-line block ×6, first 2 shown]
	s_mov_b32 s14, 0x37e14327
	s_mov_b32 s0, 0x36b3c0b5
	;; [unrolled: 1-line block ×20, first 2 shown]
	v_mul_u32_u24_e32 v0, 0x77, v0
	v_add_lshl_u32 v236, v0, v1, 4
	s_waitcnt lgkmcnt(0)
	s_barrier
	s_movk_i32 s33, 0x60
	s_waitcnt vmcnt(5)
	v_mul_f64 v[92:93], v[70:71], v[50:51]
	v_mul_f64 v[94:95], v[68:69], v[50:51]
	s_waitcnt vmcnt(4)
	v_mul_f64 v[96:97], v[74:75], v[46:47]
	s_waitcnt vmcnt(3)
	v_mul_f64 v[100:101], v[78:79], v[42:43]
	v_mul_f64 v[102:103], v[76:77], v[42:43]
	s_waitcnt vmcnt(1)
	v_mul_f64 v[108:109], v[86:87], v[62:63]
	s_waitcnt vmcnt(0)
	v_mul_f64 v[112:113], v[90:91], v[54:55]
	v_mul_f64 v[98:99], v[72:73], v[46:47]
	;; [unrolled: 1-line block ×5, first 2 shown]
	v_fma_f64 v[68:69], v[68:69], v[48:49], -v[92:93]
	v_fmac_f64_e32 v[94:95], v[70:71], v[48:49]
	v_fma_f64 v[70:71], v[72:73], v[44:45], -v[96:97]
	v_fma_f64 v[72:73], v[76:77], v[40:41], -v[100:101]
	v_fmac_f64_e32 v[102:103], v[78:79], v[40:41]
	v_fma_f64 v[76:77], v[84:85], v[60:61], -v[108:109]
	v_fma_f64 v[78:79], v[88:89], v[52:53], -v[112:113]
	v_mul_f64 v[106:107], v[80:81], v[38:39]
	v_fmac_f64_e32 v[98:99], v[74:75], v[44:45]
	v_fma_f64 v[74:75], v[80:81], v[36:37], -v[104:105]
	v_fmac_f64_e32 v[110:111], v[86:87], v[60:61]
	v_fmac_f64_e32 v[114:115], v[90:91], v[52:53]
	v_add_f64 v[80:81], v[68:69], v[78:79]
	v_add_f64 v[84:85], v[70:71], v[76:77]
	v_fmac_f64_e32 v[106:107], v[82:83], v[36:37]
	v_add_f64 v[82:83], v[94:95], v[114:115]
	v_add_f64 v[86:87], v[98:99], v[110:111]
	;; [unrolled: 1-line block ×4, first 2 shown]
	v_add_f64 v[68:69], v[68:69], -v[78:79]
	v_add_f64 v[78:79], v[94:95], -v[114:115]
	v_add_f64 v[90:91], v[102:103], v[106:107]
	v_add_f64 v[94:95], v[86:87], v[82:83]
	v_add_f64 v[96:97], v[84:85], -v[80:81]
	v_add_f64 v[80:81], v[80:81], -v[88:89]
	;; [unrolled: 1-line block ×3, first 2 shown]
	v_add_f64 v[88:89], v[88:89], v[92:93]
	v_add_f64 v[70:71], v[70:71], -v[76:77]
	v_add_f64 v[76:77], v[98:99], -v[110:111]
	;; [unrolled: 1-line block ×7, first 2 shown]
	v_add_f64 v[90:91], v[90:91], v[94:95]
	v_add_f64 v[64:65], v[64:65], v[88:89]
	;; [unrolled: 1-line block ×4, first 2 shown]
	v_add_f64 v[104:105], v[72:73], -v[70:71]
	v_add_f64 v[106:107], v[74:75], -v[76:77]
	;; [unrolled: 1-line block ×4, first 2 shown]
	v_add_f64 v[66:67], v[66:67], v[90:91]
	v_mov_b64_e32 v[108:109], v[64:65]
	v_add_f64 v[72:73], v[68:69], -v[72:73]
	v_add_f64 v[74:75], v[78:79], -v[74:75]
	v_add_f64 v[68:69], v[100:101], v[68:69]
	v_add_f64 v[78:79], v[102:103], v[78:79]
	v_mul_f64 v[80:81], v[80:81], s[14:15]
	v_mul_f64 v[82:83], v[82:83], s[14:15]
	;; [unrolled: 1-line block ×8, first 2 shown]
	v_fmac_f64_e32 v[108:109], s[20:21], v[88:89]
	v_mov_b64_e32 v[88:89], v[66:67]
	v_fmac_f64_e32 v[88:89], s[20:21], v[90:91]
	v_fma_f64 v[90:91], v[96:97], s[22:23], -v[92:93]
	v_fma_f64 v[92:93], v[98:99], s[22:23], -v[94:95]
	v_fma_f64 v[94:95], v[96:97], s[24:25], -v[80:81]
	v_fmac_f64_e32 v[80:81], s[0:1], v[84:85]
	v_fma_f64 v[84:85], v[98:99], s[24:25], -v[82:83]
	v_fmac_f64_e32 v[82:83], s[0:1], v[86:87]
	v_fma_f64 v[86:87], v[70:71], s[18:19], -v[100:101]
	;; [unrolled: 2-line block ×4, first 2 shown]
	v_fma_f64 v[104:105], v[74:75], s[30:31], -v[106:107]
	v_add_f64 v[106:107], v[80:81], v[108:109]
	v_add_f64 v[110:111], v[82:83], v[88:89]
	;; [unrolled: 1-line block ×6, first 2 shown]
	v_fmac_f64_e32 v[100:101], s[28:29], v[68:69]
	v_fmac_f64_e32 v[102:103], s[28:29], v[78:79]
	;; [unrolled: 1-line block ×6, first 2 shown]
	v_add_f64 v[68:69], v[102:103], v[106:107]
	v_add_f64 v[70:71], v[110:111], -v[100:101]
	v_add_f64 v[72:73], v[104:105], v[90:91]
	v_add_f64 v[74:75], v[88:89], -v[98:99]
	v_add_f64 v[76:77], v[80:81], -v[96:97]
	v_add_f64 v[78:79], v[86:87], v[82:83]
	v_add_f64 v[80:81], v[96:97], v[80:81]
	v_add_f64 v[82:83], v[82:83], -v[86:87]
	v_add_f64 v[84:85], v[90:91], -v[104:105]
	v_add_f64 v[86:87], v[98:99], v[88:89]
	v_add_f64 v[88:89], v[106:107], -v[102:103]
	v_add_f64 v[90:91], v[100:101], v[110:111]
	ds_write_b128 v236, v[64:67]
	ds_write_b128 v236, v[68:71] offset:272
	ds_write_b128 v236, v[72:75] offset:544
	;; [unrolled: 1-line block ×6, first 2 shown]
	v_mov_b64_e32 v[64:65], s[10:11]
	v_mad_u64_u32 v[88:89], s[10:11], v169, s33, v[64:65]
	s_waitcnt lgkmcnt(0)
	s_barrier
	global_load_dwordx4 v[76:79], v[88:89], off offset:1632
	global_load_dwordx4 v[72:75], v[88:89], off offset:1648
	;; [unrolled: 1-line block ×6, first 2 shown]
	ds_read_b128 v[88:91], v168
	ds_read_b128 v[92:95], v168 offset:1904
	ds_read_b128 v[96:99], v168 offset:3808
	ds_read_b128 v[100:103], v168 offset:5712
	ds_read_b128 v[104:107], v168 offset:7616
	ds_read_b128 v[108:111], v168 offset:9520
	ds_read_b128 v[112:115], v168 offset:11424
	s_waitcnt vmcnt(5) lgkmcnt(5)
	v_mul_f64 v[116:117], v[94:95], v[78:79]
	v_fma_f64 v[116:117], v[92:93], v[76:77], -v[116:117]
	v_mul_f64 v[92:93], v[92:93], v[78:79]
	v_fmac_f64_e32 v[92:93], v[94:95], v[76:77]
	s_waitcnt vmcnt(4) lgkmcnt(4)
	v_mul_f64 v[94:95], v[98:99], v[74:75]
	v_fma_f64 v[94:95], v[96:97], v[72:73], -v[94:95]
	v_mul_f64 v[96:97], v[96:97], v[74:75]
	v_fmac_f64_e32 v[96:97], v[98:99], v[72:73]
	;; [unrolled: 5-line block ×6, first 2 shown]
	v_add_f64 v[114:115], v[116:117], v[110:111]
	v_add_f64 v[118:119], v[92:93], v[112:113]
	v_add_f64 v[110:111], v[116:117], -v[110:111]
	v_add_f64 v[92:93], v[92:93], -v[112:113]
	v_add_f64 v[112:113], v[94:95], v[106:107]
	v_add_f64 v[116:117], v[96:97], v[108:109]
	v_add_f64 v[94:95], v[94:95], -v[106:107]
	v_add_f64 v[96:97], v[96:97], -v[108:109]
	;; [unrolled: 4-line block ×4, first 2 shown]
	v_add_f64 v[114:115], v[114:115], -v[106:107]
	v_add_f64 v[118:119], v[118:119], -v[108:109]
	;; [unrolled: 1-line block ×4, first 2 shown]
	v_add_f64 v[124:125], v[98:99], v[94:95]
	v_add_f64 v[126:127], v[100:101], v[96:97]
	v_add_f64 v[128:129], v[98:99], -v[94:95]
	v_add_f64 v[130:131], v[100:101], -v[96:97]
	;; [unrolled: 1-line block ×4, first 2 shown]
	v_add_f64 v[102:103], v[106:107], v[102:103]
	v_add_f64 v[104:105], v[108:109], v[104:105]
	v_add_f64 v[98:99], v[110:111], -v[98:99]
	v_add_f64 v[100:101], v[92:93], -v[100:101]
	v_add_f64 v[106:107], v[124:125], v[110:111]
	v_add_f64 v[92:93], v[126:127], v[92:93]
	;; [unrolled: 1-line block ×4, first 2 shown]
	v_mul_f64 v[108:109], v[114:115], s[14:15]
	v_mul_f64 v[110:111], v[118:119], s[14:15]
	;; [unrolled: 1-line block ×8, first 2 shown]
	v_fma_f64 v[102:103], s[20:21], v[102:103], v[88:89]
	v_fma_f64 v[104:105], s[20:21], v[104:105], v[90:91]
	v_fma_f64 v[112:113], s[0:1], v[112:113], v[108:109]
	v_fma_f64 v[114:115], v[120:121], s[22:23], -v[114:115]
	v_fma_f64 v[118:119], v[122:123], s[22:23], -v[118:119]
	;; [unrolled: 1-line block ×4, first 2 shown]
	v_fmac_f64_e32 v[110:111], s[0:1], v[116:117]
	v_fma_f64 v[116:117], s[26:27], v[98:99], v[124:125]
	v_fma_f64 v[122:123], v[94:95], s[18:19], -v[124:125]
	v_fma_f64 v[124:125], v[96:97], s[18:19], -v[126:127]
	v_fmac_f64_e32 v[126:127], s[26:27], v[100:101]
	v_fma_f64 v[128:129], v[98:99], s[30:31], -v[128:129]
	v_fma_f64 v[130:131], v[100:101], s[30:31], -v[130:131]
	v_add_f64 v[112:113], v[112:113], v[102:103]
	v_add_f64 v[132:133], v[110:111], v[104:105]
	;; [unrolled: 1-line block ×6, first 2 shown]
	v_fmac_f64_e32 v[116:117], s[28:29], v[106:107]
	v_fmac_f64_e32 v[126:127], s[28:29], v[92:93]
	;; [unrolled: 1-line block ×6, first 2 shown]
	v_add_f64 v[92:93], v[126:127], v[112:113]
	v_add_f64 v[94:95], v[132:133], -v[116:117]
	v_add_f64 v[96:97], v[130:131], v[108:109]
	v_add_f64 v[98:99], v[118:119], -v[128:129]
	v_add_f64 v[100:101], v[110:111], -v[124:125]
	v_add_f64 v[102:103], v[122:123], v[114:115]
	v_add_f64 v[104:105], v[124:125], v[110:111]
	v_add_f64 v[106:107], v[114:115], -v[122:123]
	v_add_f64 v[108:109], v[108:109], -v[130:131]
	v_add_f64 v[110:111], v[128:129], v[118:119]
	v_add_f64 v[112:113], v[112:113], -v[126:127]
	v_add_f64 v[114:115], v[116:117], v[132:133]
	ds_write_b128 v168, v[88:91]
	ds_write_b128 v168, v[92:95] offset:1904
	ds_write_b128 v168, v[96:99] offset:3808
	ds_write_b128 v168, v[100:103] offset:5712
	ds_write_b128 v168, v[104:107] offset:7616
	ds_write_b128 v168, v[108:111] offset:9520
	ds_write_b128 v168, v[112:115] offset:11424
	s_waitcnt lgkmcnt(0)
	s_barrier
	s_and_saveexec_b64 s[10:11], s[2:3]
	s_cbranch_execz .LBB0_9
; %bb.8:
	v_mov_b32_e32 v0, v169
	v_mov_b32_e32 v169, 0
	v_lshl_add_u64 v[160:161], s[8:9], 0, v[168:169]
	s_mov_b64 s[0:1], 0x3410
	v_lshl_add_u64 v[140:141], v[160:161], 0, s[0:1]
	s_movk_i32 s0, 0x4000
	v_add_co_u32_e64 v152, s[0:1], s0, v160
	global_load_dwordx4 v[116:119], v[140:141], off offset:784
	global_load_dwordx4 v[120:123], v[140:141], off offset:1568
	;; [unrolled: 1-line block ×4, first 2 shown]
	v_addc_co_u32_e64 v153, s[0:1], 0, v161, s[0:1]
	global_load_dwordx4 v[132:135], v[152:153], off offset:1648
	v_add_co_u32_e32 v142, vcc, 0x3000, v160
	s_movk_i32 s0, 0x5000
	s_nop 0
	v_addc_co_u32_e32 v143, vcc, 0, v161, vcc
	global_load_dwordx4 v[136:139], v[152:153], off offset:2432
	global_load_dwordx4 v[144:147], v[142:143], off offset:1040
	s_nop 0
	global_load_dwordx4 v[140:143], v[140:141], off offset:3920
	s_nop 0
	;; [unrolled: 2-line block ×3, first 2 shown]
	global_load_dwordx4 v[152:155], v[152:153], off offset:4000
	v_add_co_u32_e32 v166, vcc, s0, v160
	s_movk_i32 s0, 0x6000
	s_nop 0
	v_addc_co_u32_e32 v167, vcc, 0, v161, vcc
	global_load_dwordx4 v[156:159], v[166:167], off offset:688
	global_load_dwordx4 v[162:165], v[166:167], off offset:1472
	ds_read_b128 v[172:175], v168
	ds_read_b128 v[176:179], v168 offset:784
	ds_read_b128 v[180:183], v168 offset:1568
	;; [unrolled: 1-line block ×3, first 2 shown]
	global_load_dwordx4 v[188:191], v[166:167], off offset:2256
	ds_read_b128 v[192:195], v168 offset:3136
	ds_read_b128 v[196:199], v168 offset:3920
	;; [unrolled: 1-line block ×4, first 2 shown]
	global_load_dwordx4 v[208:211], v[166:167], off offset:3040
	v_add_co_u32_e32 v160, vcc, s0, v160
	v_mov_b32_e32 v169, v0
	s_nop 0
	v_addc_co_u32_e32 v161, vcc, 0, v161, vcc
	global_load_dwordx4 v[212:215], v[166:167], off offset:3824
	global_load_dwordx4 v[216:219], v[160:161], off offset:512
	;; [unrolled: 1-line block ×3, first 2 shown]
	s_waitcnt vmcnt(16) lgkmcnt(6)
	v_mul_f64 v[160:161], v[178:179], v[118:119]
	v_mul_f64 v[226:227], v[176:177], v[118:119]
	s_waitcnt vmcnt(15) lgkmcnt(5)
	v_mul_f64 v[166:167], v[182:183], v[122:123]
	v_mul_f64 v[118:119], v[180:181], v[122:123]
	s_waitcnt vmcnt(14) lgkmcnt(4)
	v_mul_f64 v[170:171], v[186:187], v[126:127]
	v_mul_f64 v[122:123], v[184:185], v[126:127]
	s_waitcnt vmcnt(13) lgkmcnt(3)
	v_mul_f64 v[228:229], v[194:195], v[130:131]
	v_mul_f64 v[126:127], v[192:193], v[130:131]
	s_waitcnt vmcnt(12) lgkmcnt(1)
	v_mul_f64 v[230:231], v[202:203], v[134:135]
	v_mul_f64 v[130:131], v[200:201], v[134:135]
	s_waitcnt vmcnt(10)
	v_mul_f64 v[234:235], v[174:175], v[146:147]
	v_mul_f64 v[134:135], v[172:173], v[146:147]
	v_fma_f64 v[224:225], v[176:177], v[116:117], -v[160:161]
	v_fmac_f64_e32 v[226:227], v[178:179], v[116:117]
	v_fma_f64 v[116:117], v[180:181], v[120:121], -v[166:167]
	v_fmac_f64_e32 v[118:119], v[182:183], v[120:121]
	;; [unrolled: 2-line block ×4, first 2 shown]
	s_waitcnt vmcnt(9)
	v_mul_f64 v[160:161], v[198:199], v[142:143]
	v_mul_f64 v[146:147], v[196:197], v[142:143]
	v_fma_f64 v[128:129], v[200:201], v[132:133], -v[230:231]
	v_fmac_f64_e32 v[130:131], v[202:203], v[132:133]
	v_fma_f64 v[132:133], v[172:173], v[144:145], -v[234:235]
	v_fmac_f64_e32 v[134:135], v[174:175], v[144:145]
	ds_write_b128 v168, v[224:227] offset:784
	ds_write_b128 v168, v[116:119] offset:1568
	;; [unrolled: 1-line block ×4, first 2 shown]
	v_fma_f64 v[144:145], v[196:197], v[140:141], -v[160:161]
	v_fmac_f64_e32 v[146:147], v[198:199], v[140:141]
	ds_write_b128 v168, v[128:131] offset:4704
	ds_write_b128 v168, v[132:135]
	ds_write_b128 v168, v[144:147] offset:3920
	ds_read_b128 v[116:119], v168 offset:6272
	ds_read_b128 v[120:123], v168 offset:7056
	s_waitcnt lgkmcnt(9)
	v_mul_f64 v[232:233], v[206:207], v[138:139]
	v_mul_f64 v[144:145], v[204:205], v[138:139]
	v_fma_f64 v[142:143], v[204:205], v[136:137], -v[232:233]
	s_waitcnt vmcnt(8) lgkmcnt(1)
	v_mul_f64 v[124:125], v[118:119], v[150:151]
	v_mul_f64 v[126:127], v[116:117], v[150:151]
	v_fma_f64 v[124:125], v[116:117], v[148:149], -v[124:125]
	v_fmac_f64_e32 v[126:127], v[118:119], v[148:149]
	ds_write_b128 v168, v[124:127] offset:6272
	ds_read_b128 v[124:127], v168 offset:7840
	s_waitcnt vmcnt(7) lgkmcnt(2)
	v_mul_f64 v[116:117], v[122:123], v[154:155]
	v_mul_f64 v[118:119], v[120:121], v[154:155]
	v_fma_f64 v[116:117], v[120:121], v[152:153], -v[116:117]
	v_fmac_f64_e32 v[118:119], v[122:123], v[152:153]
	ds_write_b128 v168, v[116:119] offset:7056
	ds_read_b128 v[116:119], v168 offset:8624
	s_waitcnt vmcnt(6) lgkmcnt(2)
	v_mul_f64 v[120:121], v[126:127], v[158:159]
	v_mul_f64 v[122:123], v[124:125], v[158:159]
	v_fma_f64 v[120:121], v[124:125], v[156:157], -v[120:121]
	v_fmac_f64_e32 v[122:123], v[126:127], v[156:157]
	ds_read_b128 v[124:127], v168 offset:9408
	ds_write_b128 v168, v[120:123] offset:7840
	s_waitcnt vmcnt(5) lgkmcnt(2)
	v_mul_f64 v[120:121], v[118:119], v[164:165]
	v_mul_f64 v[122:123], v[116:117], v[164:165]
	v_fma_f64 v[120:121], v[116:117], v[162:163], -v[120:121]
	v_fmac_f64_e32 v[122:123], v[118:119], v[162:163]
	ds_read_b128 v[116:119], v168 offset:10192
	ds_write_b128 v168, v[120:123] offset:8624
	;; [unrolled: 7-line block ×4, first 2 shown]
	s_waitcnt vmcnt(2) lgkmcnt(3)
	v_mul_f64 v[120:121], v[126:127], v[214:215]
	v_mul_f64 v[122:123], v[124:125], v[214:215]
	v_fma_f64 v[120:121], v[124:125], v[212:213], -v[120:121]
	v_fmac_f64_e32 v[122:123], v[126:127], v[212:213]
	ds_write_b128 v168, v[120:123] offset:10976
	ds_read_b128 v[120:123], v168 offset:12544
	s_waitcnt vmcnt(1) lgkmcnt(3)
	v_mul_f64 v[124:125], v[118:119], v[218:219]
	v_mul_f64 v[126:127], v[116:117], v[218:219]
	v_fma_f64 v[124:125], v[116:117], v[216:217], -v[124:125]
	v_fmac_f64_e32 v[126:127], v[118:119], v[216:217]
	s_waitcnt vmcnt(0) lgkmcnt(0)
	v_mul_f64 v[116:117], v[122:123], v[222:223]
	v_mul_f64 v[118:119], v[120:121], v[222:223]
	v_fmac_f64_e32 v[144:145], v[206:207], v[136:137]
	v_fma_f64 v[116:117], v[120:121], v[220:221], -v[116:117]
	v_fmac_f64_e32 v[118:119], v[122:123], v[220:221]
	ds_write_b128 v168, v[142:145] offset:5488
	ds_write_b128 v168, v[124:127] offset:11760
	;; [unrolled: 1-line block ×3, first 2 shown]
.LBB0_9:
	s_or_b64 exec, exec, s[10:11]
	s_waitcnt lgkmcnt(0)
	s_barrier
	s_and_saveexec_b64 s[0:1], s[2:3]
	s_cbranch_execz .LBB0_11
; %bb.10:
	ds_read_b128 v[88:91], v168
	ds_read_b128 v[92:95], v168 offset:784
	ds_read_b128 v[96:99], v168 offset:1568
	;; [unrolled: 1-line block ×16, first 2 shown]
.LBB0_11:
	s_or_b64 exec, exec, s[0:1]
	s_waitcnt lgkmcnt(0)
	s_barrier
	s_and_saveexec_b64 s[0:1], s[2:3]
	s_cbranch_execz .LBB0_13
; %bb.12:
	v_mov_b64_e32 v[158:159], v[28:29]
	v_add_f64 v[174:175], v[58:59], v[28:29]
	v_mov_b32_e32 v237, v30
	v_mov_b64_e32 v[156:157], v[26:27]
	v_mov_b64_e32 v[150:151], v[16:17]
	;; [unrolled: 1-line block ×3, first 2 shown]
	v_add_f64 v[192:193], v[108:109], -v[14:15]
	v_add_f64 v[182:183], v[106:107], v[12:13]
	v_mov_b64_e32 v[148:149], v[14:15]
	v_mov_b64_e32 v[154:155], v[20:21]
	;; [unrolled: 1-line block ×3, first 2 shown]
	v_accvgpr_read_b32 v15, a5
	v_add_f64 v[188:189], v[112:113], -v[18:19]
	v_add_f64 v[178:179], v[110:111], v[16:17]
	v_mov_b64_e32 v[152:153], v[18:19]
	v_accvgpr_read_b32 v19, a9
	v_accvgpr_read_b32 v13, a3
	;; [unrolled: 1-line block ×3, first 2 shown]
	s_mov_b32 s36, 0xacd6c6b4
	v_accvgpr_read_b32 v17, a7
	v_accvgpr_read_b32 v16, a6
	s_mov_b32 s40, 0x5d8e7cdc
	v_accvgpr_read_b32 v14, a4
	v_add_f64 v[218:219], v[92:93], -v[12:13]
	s_mov_b32 s37, 0xbfc7851a
	s_mov_b32 s30, 0x7faef3
	v_accvgpr_read_b32 v18, a8
	v_add_f64 v[216:217], v[96:97], -v[16:17]
	s_mov_b32 s41, 0x3fd71e95
	s_mov_b32 s26, 0x370991
	v_mul_f64 v[144:145], v[218:219], s[36:37]
	v_add_f64 v[194:195], v[94:95], v[14:15]
	s_mov_b32 s31, 0xbfef7484
	v_add_f64 v[234:235], v[94:95], -v[14:15]
	s_mov_b32 s46, 0x2a9d6da3
	v_add_f64 v[208:209], v[100:101], -v[6:7]
	s_mov_b32 s24, 0x910ea3b9
	v_mul_f64 v[140:141], v[216:217], s[40:41]
	v_add_f64 v[190:191], v[98:99], v[18:19]
	s_mov_b32 s27, 0x3fedd6d0
	v_fma_f64 v[146:147], s[30:31], v[194:195], v[144:145]
	v_accvgpr_write_b32 a10, v156
	v_add_f64 v[232:233], v[98:99], -v[18:19]
	v_add_f64 v[214:215], v[92:93], v[12:13]
	v_mul_f64 v[162:163], v[234:235], s[36:37]
	s_mov_b32 s28, 0x6c9a05f6
	v_add_f64 v[196:197], v[104:105], -v[10:11]
	s_mov_b32 s47, 0x3fe58eea
	s_mov_b32 s20, 0x75d4884
	v_mul_f64 v[136:137], v[208:209], s[34:35]
	v_add_f64 v[186:187], v[102:103], v[8:9]
	s_mov_b32 s25, 0xbfeb34fa
	v_fma_f64 v[142:143], s[26:27], v[190:191], v[140:141]
	v_add_f64 v[146:147], v[90:91], v[146:147]
	v_add_f64 v[222:223], v[58:59], -v[158:159]
	v_accvgpr_write_b32 a11, v157
	v_accvgpr_write_b32 a12, v158
	;; [unrolled: 1-line block ×4, first 2 shown]
	v_add_f64 v[230:231], v[102:103], -v[8:9]
	v_add_f64 v[212:213], v[96:97], v[16:17]
	v_mul_f64 v[158:159], v[232:233], s[40:41]
	v_fma_f64 v[164:165], v[214:215], s[30:31], -v[162:163]
	s_mov_b32 s38, 0x7c9e640b
	s_mov_b32 s29, 0xbfe9895b
	;; [unrolled: 1-line block ×3, first 2 shown]
	v_mul_f64 v[132:133], v[196:197], s[46:47]
	s_mov_b32 s21, 0x3fe7a5f6
	v_fma_f64 v[138:139], s[24:25], v[186:187], v[136:137]
	v_add_f64 v[142:143], v[142:143], v[146:147]
	v_add_f64 v[224:225], v[114:115], -v[154:155]
	v_accvgpr_write_b32 a15, v153
	v_accvgpr_write_b32 a16, v154
	;; [unrolled: 1-line block ×4, first 2 shown]
	v_add_f64 v[228:229], v[106:107], -v[30:31]
	v_add_f64 v[210:211], v[100:101], v[6:7]
	v_mul_f64 v[154:155], v[230:231], s[34:35]
	v_fma_f64 v[160:161], v[212:213], s[26:27], -v[158:159]
	v_add_f64 v[164:165], v[88:89], v[164:165]
	s_mov_b32 s22, 0x923c349f
	s_mov_b32 s39, 0x3feca52d
	;; [unrolled: 1-line block ×3, first 2 shown]
	v_mul_f64 v[128:129], v[192:193], s[28:29]
	s_mov_b32 s19, 0xbfe348c8
	v_fma_f64 v[134:135], s[20:21], v[182:183], v[132:133]
	v_add_f64 v[138:139], v[138:139], v[142:143]
	v_add_f64 v[200:201], v[56:57], v[156:157]
	v_add_f64 v[226:227], v[110:111], -v[150:151]
	v_accvgpr_write_b32 a19, v149
	v_accvgpr_write_b32 a20, v150
	;; [unrolled: 1-line block ×3, first 2 shown]
	v_add_f64 v[206:207], v[104:105], v[28:29]
	v_mul_f64 v[150:151], v[228:229], s[46:47]
	v_fma_f64 v[156:157], v[210:211], s[24:25], -v[154:155]
	v_add_f64 v[160:161], v[160:161], v[164:165]
	s_mov_b32 s50, 0xeb564b22
	v_add_f64 v[184:185], v[56:57], -v[26:27]
	s_mov_b32 s23, 0xbfeec746
	s_mov_b32 s14, 0xc61f0d01
	v_mul_f64 v[124:125], v[188:189], s[38:39]
	v_add_f64 v[176:177], v[114:115], v[20:21]
	s_mov_b32 s17, 0x3fdc86fa
	v_fma_f64 v[130:131], s[18:19], v[178:179], v[128:129]
	v_add_f64 v[134:135], v[134:135], v[138:139]
	v_add_f64 v[202:203], v[112:113], v[152:153]
	;; [unrolled: 1-line block ×3, first 2 shown]
	v_mul_f64 v[146:147], v[226:227], s[28:29]
	v_fma_f64 v[152:153], v[206:207], s[20:21], -v[150:151]
	v_add_f64 v[156:157], v[156:157], v[160:161]
	v_add_f64 v[180:181], v[32:33], -v[22:23]
	s_mov_b32 s51, 0x3fefdd0d
	v_add_f64 v[172:173], v[34:35], v[24:25]
	s_mov_b32 s10, 0x3259b75e
	v_mul_f64 v[122:123], v[184:185], s[22:23]
	s_mov_b32 s15, 0xbfd183b1
	v_fma_f64 v[126:127], s[16:17], v[176:177], v[124:125]
	v_mov_b64_e32 v[26:27], v[24:25]
	v_add_f64 v[130:131], v[130:131], v[134:135]
	v_mul_f64 v[138:139], v[224:225], s[38:39]
	v_fma_f64 v[148:149], v[204:205], s[18:19], -v[146:147]
	v_add_f64 v[152:153], v[152:153], v[156:157]
	v_mul_f64 v[120:121], v[180:181], s[50:51]
	s_mov_b32 s11, 0x3fb79ee6
	v_fma_f64 v[118:119], s[14:15], v[174:175], v[122:123]
	v_mov_b64_e32 v[24:25], v[22:23]
	v_add_f64 v[126:127], v[126:127], v[130:131]
	v_add_f64 v[220:221], v[34:35], -v[26:27]
	v_mul_f64 v[130:131], v[222:223], s[22:23]
	v_fma_f64 v[142:143], v[202:203], s[16:17], -v[138:139]
	v_add_f64 v[148:149], v[148:149], v[152:153]
	v_fma_f64 v[116:117], s[10:11], v[172:173], v[120:121]
	v_add_f64 v[118:119], v[118:119], v[126:127]
	v_add_f64 v[198:199], v[32:33], v[24:25]
	v_mul_f64 v[126:127], v[220:221], s[50:51]
	v_fma_f64 v[134:135], v[200:201], s[14:15], -v[130:131]
	v_add_f64 v[142:143], v[142:143], v[148:149]
	v_add_f64 v[2:3], v[116:117], v[118:119]
	v_fma_f64 v[116:117], v[198:199], s[10:11], -v[126:127]
	v_add_f64 v[134:135], v[134:135], v[142:143]
	v_add_f64 v[0:1], v[116:117], v[134:135]
	v_fma_f64 v[134:135], v[186:187], s[24:25], -v[136:137]
	v_fma_f64 v[136:137], v[190:191], s[26:27], -v[140:141]
	;; [unrolled: 1-line block ×3, first 2 shown]
	v_add_f64 v[140:141], v[90:91], v[140:141]
	v_add_f64 v[136:137], v[136:137], v[140:141]
	v_fma_f64 v[132:133], v[182:183], s[20:21], -v[132:133]
	v_add_f64 v[134:135], v[134:135], v[136:137]
	v_fma_f64 v[128:129], v[178:179], s[18:19], -v[128:129]
	;; [unrolled: 2-line block ×4, first 2 shown]
	v_add_f64 v[124:125], v[124:125], v[128:129]
	v_accvgpr_write_b32 a5, v3
	v_fma_f64 v[120:121], v[172:173], s[10:11], -v[120:121]
	v_add_f64 v[122:123], v[122:123], v[124:125]
	v_fmac_f64_e32 v[162:163], s[30:31], v[214:215]
	v_accvgpr_write_b32 a4, v2
	v_accvgpr_write_b32 a3, v1
	;; [unrolled: 1-line block ×3, first 2 shown]
	v_add_f64 v[2:3], v[120:121], v[122:123]
	v_fmac_f64_e32 v[158:159], s[26:27], v[212:213]
	v_add_f64 v[120:121], v[88:89], v[162:163]
	v_fmac_f64_e32 v[154:155], s[24:25], v[210:211]
	v_add_f64 v[120:121], v[158:159], v[120:121]
	v_mul_f64 v[152:153], v[218:219], s[34:35]
	v_fmac_f64_e32 v[150:151], s[20:21], v[206:207]
	v_add_f64 v[120:121], v[154:155], v[120:121]
	s_mov_b32 s45, 0xbfefdd0d
	s_mov_b32 s44, s50
	v_mul_f64 v[148:149], v[216:217], s[38:39]
	v_fma_f64 v[154:155], s[24:25], v[194:195], v[152:153]
	v_mul_f64 v[238:239], v[234:235], s[34:35]
	v_fmac_f64_e32 v[146:147], s[18:19], v[204:205]
	v_add_f64 v[120:121], v[150:151], v[120:121]
	s_mov_b32 s57, 0x3fe9895b
	s_mov_b32 s56, s28
	v_mul_f64 v[144:145], v[208:209], s[44:45]
	v_fma_f64 v[150:151], s[16:17], v[190:191], v[148:149]
	v_add_f64 v[154:155], v[90:91], v[154:155]
	v_mul_f64 v[166:167], v[232:233], s[38:39]
	v_fma_f64 v[240:241], v[214:215], s[24:25], -v[238:239]
	v_add_f64 v[120:121], v[146:147], v[120:121]
	s_mov_b32 s43, 0xbfd71e95
	s_mov_b32 s42, s40
	v_mul_f64 v[140:141], v[196:197], s[56:57]
	v_fma_f64 v[146:147], s[10:11], v[186:187], v[144:145]
	v_add_f64 v[150:151], v[150:151], v[154:155]
	v_mul_f64 v[162:163], v[230:231], s[44:45]
	v_fma_f64 v[170:171], v[212:213], s[16:17], -v[166:167]
	v_add_f64 v[240:241], v[88:89], v[240:241]
	v_fmac_f64_e32 v[138:139], s[16:17], v[202:203]
	v_mul_f64 v[136:137], v[192:193], s[42:43]
	v_fma_f64 v[142:143], s[18:19], v[182:183], v[140:141]
	v_add_f64 v[146:147], v[146:147], v[150:151]
	v_mul_f64 v[158:159], v[228:229], s[56:57]
	v_fma_f64 v[164:165], v[210:211], s[10:11], -v[162:163]
	v_add_f64 v[170:171], v[170:171], v[240:241]
	v_fmac_f64_e32 v[130:131], s[14:15], v[200:201]
	v_add_f64 v[120:121], v[138:139], v[120:121]
	v_mul_f64 v[132:133], v[188:189], s[36:37]
	v_fma_f64 v[138:139], s[26:27], v[178:179], v[136:137]
	v_add_f64 v[142:143], v[142:143], v[146:147]
	v_mul_f64 v[154:155], v[226:227], s[42:43]
	v_fma_f64 v[160:161], v[206:207], s[18:19], -v[158:159]
	v_add_f64 v[164:165], v[164:165], v[170:171]
	v_fmac_f64_e32 v[126:127], s[10:11], v[198:199]
	v_add_f64 v[120:121], v[130:131], v[120:121]
	v_mul_f64 v[130:131], v[184:185], s[46:47]
	v_fma_f64 v[134:135], s[30:31], v[176:177], v[132:133]
	v_add_f64 v[138:139], v[138:139], v[142:143]
	v_mul_f64 v[146:147], v[224:225], s[36:37]
	v_fma_f64 v[156:157], v[204:205], s[26:27], -v[154:155]
	v_add_f64 v[160:161], v[160:161], v[164:165]
	v_add_f64 v[0:1], v[126:127], v[120:121]
	v_mul_f64 v[128:129], v[180:181], s[22:23]
	v_fma_f64 v[126:127], s[20:21], v[174:175], v[130:131]
	v_add_f64 v[134:135], v[134:135], v[138:139]
	v_mul_f64 v[138:139], v[222:223], s[46:47]
	v_fma_f64 v[150:151], v[202:203], s[30:31], -v[146:147]
	v_add_f64 v[156:157], v[156:157], v[160:161]
	v_accvgpr_write_b32 a9, v3
	v_fma_f64 v[124:125], s[14:15], v[172:173], v[128:129]
	v_add_f64 v[126:127], v[126:127], v[134:135]
	v_mul_f64 v[134:135], v[220:221], s[22:23]
	v_fma_f64 v[142:143], v[200:201], s[20:21], -v[138:139]
	v_add_f64 v[150:151], v[150:151], v[156:157]
	v_accvgpr_write_b32 a8, v2
	v_accvgpr_write_b32 a7, v1
	;; [unrolled: 1-line block ×3, first 2 shown]
	v_add_f64 v[2:3], v[124:125], v[126:127]
	v_fma_f64 v[124:125], v[198:199], s[14:15], -v[134:135]
	v_add_f64 v[142:143], v[142:143], v[150:151]
	v_add_f64 v[0:1], v[124:125], v[142:143]
	v_fma_f64 v[142:143], v[186:187], s[10:11], -v[144:145]
	v_fma_f64 v[144:145], v[190:191], s[16:17], -v[148:149]
	;; [unrolled: 1-line block ×3, first 2 shown]
	v_add_f64 v[148:149], v[90:91], v[148:149]
	v_add_f64 v[144:145], v[144:145], v[148:149]
	v_fma_f64 v[140:141], v[182:183], s[18:19], -v[140:141]
	v_add_f64 v[142:143], v[142:143], v[144:145]
	v_fma_f64 v[136:137], v[178:179], s[26:27], -v[136:137]
	;; [unrolled: 2-line block ×4, first 2 shown]
	v_add_f64 v[132:133], v[132:133], v[136:137]
	v_accvgpr_write_b32 a25, v3
	v_fma_f64 v[128:129], v[172:173], s[14:15], -v[128:129]
	v_add_f64 v[130:131], v[130:131], v[132:133]
	v_fmac_f64_e32 v[238:239], s[24:25], v[214:215]
	v_accvgpr_write_b32 a24, v2
	v_accvgpr_write_b32 a23, v1
	;; [unrolled: 1-line block ×3, first 2 shown]
	v_add_f64 v[2:3], v[128:129], v[130:131]
	v_fmac_f64_e32 v[166:167], s[16:17], v[212:213]
	v_add_f64 v[128:129], v[88:89], v[238:239]
	v_fmac_f64_e32 v[162:163], s[10:11], v[210:211]
	v_add_f64 v[128:129], v[166:167], v[128:129]
	s_mov_b32 s55, 0x3feec746
	s_mov_b32 s54, s22
	v_mul_f64 v[160:161], v[218:219], s[28:29]
	v_fmac_f64_e32 v[158:159], s[18:19], v[206:207]
	v_add_f64 v[128:129], v[162:163], v[128:129]
	v_mul_f64 v[156:157], v[216:217], s[54:55]
	v_fma_f64 v[162:163], s[18:19], v[194:195], v[160:161]
	v_mul_f64 v[246:247], v[234:235], s[28:29]
	v_fmac_f64_e32 v[154:155], s[26:27], v[204:205]
	v_add_f64 v[128:129], v[158:159], v[128:129]
	v_mul_f64 v[152:153], v[208:209], s[42:43]
	v_fma_f64 v[158:159], s[14:15], v[190:191], v[156:157]
	v_add_f64 v[162:163], v[90:91], v[162:163]
	v_mul_f64 v[242:243], v[232:233], s[54:55]
	v_fma_f64 v[248:249], v[214:215], s[18:19], -v[246:247]
	v_add_f64 v[128:129], v[154:155], v[128:129]
	v_mul_f64 v[148:149], v[196:197], s[34:35]
	v_fma_f64 v[154:155], s[26:27], v[186:187], v[152:153]
	v_add_f64 v[158:159], v[158:159], v[162:163]
	v_mul_f64 v[238:239], v[230:231], s[42:43]
	v_fma_f64 v[244:245], v[212:213], s[14:15], -v[242:243]
	v_add_f64 v[248:249], v[88:89], v[248:249]
	v_fmac_f64_e32 v[146:147], s[30:31], v[202:203]
	s_mov_b32 s49, 0xbfe58eea
	s_mov_b32 s48, s46
	v_mul_f64 v[144:145], v[192:193], s[50:51]
	v_fma_f64 v[150:151], s[24:25], v[182:183], v[148:149]
	v_add_f64 v[154:155], v[154:155], v[158:159]
	v_mul_f64 v[166:167], v[228:229], s[34:35]
	v_fma_f64 v[240:241], v[210:211], s[26:27], -v[238:239]
	v_add_f64 v[244:245], v[244:245], v[248:249]
	v_fmac_f64_e32 v[138:139], s[20:21], v[200:201]
	v_add_f64 v[128:129], v[146:147], v[128:129]
	v_mul_f64 v[140:141], v[188:189], s[48:49]
	v_fma_f64 v[146:147], s[10:11], v[178:179], v[144:145]
	v_add_f64 v[150:151], v[150:151], v[154:155]
	v_mul_f64 v[162:163], v[226:227], s[50:51]
	v_fma_f64 v[170:171], v[206:207], s[24:25], -v[166:167]
	v_add_f64 v[240:241], v[240:241], v[244:245]
	v_fmac_f64_e32 v[134:135], s[14:15], v[198:199]
	v_add_f64 v[128:129], v[138:139], v[128:129]
	v_mul_f64 v[138:139], v[184:185], s[36:37]
	v_fma_f64 v[142:143], s[20:21], v[176:177], v[140:141]
	v_add_f64 v[146:147], v[146:147], v[150:151]
	v_mul_f64 v[154:155], v[224:225], s[48:49]
	v_fma_f64 v[164:165], v[204:205], s[10:11], -v[162:163]
	v_add_f64 v[170:171], v[170:171], v[240:241]
	v_add_f64 v[0:1], v[134:135], v[128:129]
	v_mul_f64 v[136:137], v[180:181], s[38:39]
	v_fma_f64 v[134:135], s[30:31], v[174:175], v[138:139]
	v_add_f64 v[142:143], v[142:143], v[146:147]
	v_mul_f64 v[146:147], v[222:223], s[36:37]
	v_fma_f64 v[158:159], v[202:203], s[20:21], -v[154:155]
	v_add_f64 v[164:165], v[164:165], v[170:171]
	v_fma_f64 v[132:133], s[16:17], v[172:173], v[136:137]
	v_add_f64 v[134:135], v[134:135], v[142:143]
	v_mul_f64 v[142:143], v[220:221], s[38:39]
	v_fma_f64 v[150:151], v[200:201], s[30:31], -v[146:147]
	v_add_f64 v[158:159], v[158:159], v[164:165]
	v_add_f64 v[134:135], v[132:133], v[134:135]
	v_fma_f64 v[132:133], v[198:199], s[16:17], -v[142:143]
	v_add_f64 v[150:151], v[150:151], v[158:159]
	v_add_f64 v[132:133], v[132:133], v[150:151]
	v_fma_f64 v[150:151], v[186:187], s[26:27], -v[152:153]
	v_fma_f64 v[152:153], v[190:191], s[14:15], -v[156:157]
	;; [unrolled: 1-line block ×3, first 2 shown]
	v_add_f64 v[156:157], v[90:91], v[156:157]
	v_add_f64 v[152:153], v[152:153], v[156:157]
	v_fma_f64 v[148:149], v[182:183], s[24:25], -v[148:149]
	v_add_f64 v[150:151], v[150:151], v[152:153]
	v_fma_f64 v[144:145], v[178:179], s[10:11], -v[144:145]
	;; [unrolled: 2-line block ×5, first 2 shown]
	v_add_f64 v[138:139], v[138:139], v[140:141]
	v_fmac_f64_e32 v[246:247], s[18:19], v[214:215]
	v_add_f64 v[138:139], v[136:137], v[138:139]
	v_fmac_f64_e32 v[242:243], s[14:15], v[212:213]
	;; [unrolled: 2-line block ×3, first 2 shown]
	v_add_f64 v[136:137], v[242:243], v[136:137]
	s_mov_b32 s59, 0x3fe0d888
	s_mov_b32 s58, s34
	v_mul_f64 v[170:171], v[218:219], s[22:23]
	v_fmac_f64_e32 v[166:167], s[24:25], v[206:207]
	v_add_f64 v[136:137], v[238:239], v[136:137]
	v_mul_f64 v[164:165], v[216:217], s[58:59]
	v_fma_f64 v[238:239], s[14:15], v[194:195], v[170:171]
	v_mul_f64 v[254:255], v[234:235], s[22:23]
	v_fmac_f64_e32 v[162:163], s[10:11], v[204:205]
	v_add_f64 v[136:137], v[166:167], v[136:137]
	s_mov_b32 s53, 0xbfeca52d
	s_mov_b32 s52, s38
	v_mul_f64 v[160:161], v[208:209], s[46:47]
	v_fma_f64 v[166:167], s[24:25], v[190:191], v[164:165]
	v_add_f64 v[238:239], v[90:91], v[238:239]
	v_mul_f64 v[250:251], v[232:233], s[58:59]
	v_fma_f64 v[116:117], v[214:215], s[14:15], -v[254:255]
	v_add_f64 v[136:137], v[162:163], v[136:137]
	v_mul_f64 v[156:157], v[196:197], s[52:53]
	v_fma_f64 v[162:163], s[20:21], v[186:187], v[160:161]
	v_add_f64 v[166:167], v[166:167], v[238:239]
	v_mul_f64 v[246:247], v[230:231], s[46:47]
	v_fma_f64 v[252:253], v[212:213], s[24:25], -v[250:251]
	v_add_f64 v[116:117], v[88:89], v[116:117]
	v_fmac_f64_e32 v[154:155], s[20:21], v[202:203]
	v_mul_f64 v[152:153], v[192:193], s[36:37]
	v_fma_f64 v[158:159], s[16:17], v[182:183], v[156:157]
	v_add_f64 v[162:163], v[162:163], v[166:167]
	v_mul_f64 v[242:243], v[228:229], s[52:53]
	v_fma_f64 v[248:249], v[210:211], s[20:21], -v[246:247]
	v_add_f64 v[116:117], v[252:253], v[116:117]
	v_fmac_f64_e32 v[146:147], s[30:31], v[200:201]
	v_add_f64 v[136:137], v[154:155], v[136:137]
	v_mul_f64 v[148:149], v[188:189], s[50:51]
	v_fma_f64 v[154:155], s[30:31], v[178:179], v[152:153]
	v_add_f64 v[158:159], v[158:159], v[162:163]
	v_mul_f64 v[238:239], v[226:227], s[36:37]
	v_fma_f64 v[244:245], v[206:207], s[16:17], -v[242:243]
	v_add_f64 v[116:117], v[248:249], v[116:117]
	v_fmac_f64_e32 v[142:143], s[16:17], v[198:199]
	v_add_f64 v[136:137], v[146:147], v[136:137]
	v_mul_f64 v[146:147], v[184:185], s[42:43]
	v_fma_f64 v[150:151], s[10:11], v[176:177], v[148:149]
	v_add_f64 v[154:155], v[154:155], v[158:159]
	v_mul_f64 v[162:163], v[224:225], s[50:51]
	v_fma_f64 v[240:241], v[204:205], s[30:31], -v[238:239]
	v_add_f64 v[116:117], v[244:245], v[116:117]
	v_add_f64 v[136:137], v[142:143], v[136:137]
	v_mul_f64 v[144:145], v[180:181], s[28:29]
	v_fma_f64 v[142:143], s[26:27], v[174:175], v[146:147]
	v_add_f64 v[150:151], v[150:151], v[154:155]
	v_mul_f64 v[154:155], v[222:223], s[42:43]
	v_fma_f64 v[166:167], v[202:203], s[10:11], -v[162:163]
	v_add_f64 v[116:117], v[240:241], v[116:117]
	v_fma_f64 v[140:141], s[18:19], v[172:173], v[144:145]
	v_add_f64 v[142:143], v[142:143], v[150:151]
	v_mul_f64 v[150:151], v[220:221], s[28:29]
	v_fma_f64 v[158:159], v[200:201], s[26:27], -v[154:155]
	v_add_f64 v[116:117], v[166:167], v[116:117]
	v_add_f64 v[142:143], v[140:141], v[142:143]
	v_fma_f64 v[140:141], v[198:199], s[18:19], -v[150:151]
	v_add_f64 v[116:117], v[158:159], v[116:117]
	v_fma_f64 v[158:159], v[194:195], s[14:15], -v[170:171]
	;; [unrolled: 2-line block ×3, first 2 shown]
	v_fma_f64 v[144:145], v[176:177], s[10:11], -v[148:149]
	v_fma_f64 v[148:149], v[182:183], s[16:17], -v[156:157]
	;; [unrolled: 1-line block ×3, first 2 shown]
	v_add_f64 v[158:159], v[90:91], v[158:159]
	v_fma_f64 v[118:119], v[174:175], s[26:27], -v[146:147]
	v_fma_f64 v[146:147], v[178:179], s[30:31], -v[152:153]
	;; [unrolled: 1-line block ×3, first 2 shown]
	v_add_f64 v[156:157], v[156:157], v[158:159]
	v_add_f64 v[152:153], v[152:153], v[156:157]
	;; [unrolled: 1-line block ×6, first 2 shown]
	v_fmac_f64_e32 v[254:255], s[14:15], v[214:215]
	v_add_f64 v[146:147], v[116:117], v[118:119]
	v_fmac_f64_e32 v[250:251], s[24:25], v[212:213]
	v_add_f64 v[116:117], v[88:89], v[254:255]
	;; [unrolled: 2-line block ×4, first 2 shown]
	v_mul_f64 v[240:241], v[218:219], s[44:45]
	v_accvgpr_write_b32 a29, v3
	v_fmac_f64_e32 v[238:239], s[30:31], v[204:205]
	v_add_f64 v[116:117], v[242:243], v[116:117]
	v_mul_f64 v[170:171], v[216:217], s[36:37]
	v_fma_f64 v[242:243], s[10:11], v[194:195], v[240:241]
	v_accvgpr_write_b32 a28, v2
	v_accvgpr_write_b32 a27, v1
	;; [unrolled: 1-line block ×3, first 2 shown]
	v_add_f64 v[116:117], v[238:239], v[116:117]
	v_mul_f64 v[164:165], v[208:209], s[54:55]
	v_fma_f64 v[238:239], s[30:31], v[190:191], v[170:171]
	v_add_f64 v[242:243], v[90:91], v[242:243]
	v_mul_f64 v[2:3], v[234:235], s[44:45]
	v_fmac_f64_e32 v[162:163], s[10:11], v[202:203]
	v_mul_f64 v[160:161], v[196:197], s[40:41]
	v_fma_f64 v[166:167], s[14:15], v[186:187], v[164:165]
	v_add_f64 v[238:239], v[238:239], v[242:243]
	v_mul_f64 v[254:255], v[232:233], s[36:37]
	v_fma_f64 v[120:121], v[214:215], s[10:11], -v[2:3]
	v_fmac_f64_e32 v[154:155], s[26:27], v[200:201]
	v_add_f64 v[116:117], v[162:163], v[116:117]
	v_mul_f64 v[156:157], v[192:193], s[52:53]
	v_fma_f64 v[162:163], s[26:27], v[182:183], v[160:161]
	v_add_f64 v[166:167], v[166:167], v[238:239]
	v_mul_f64 v[250:251], v[230:231], s[54:55]
	v_fma_f64 v[0:1], v[212:213], s[30:31], -v[254:255]
	v_add_f64 v[120:121], v[88:89], v[120:121]
	v_fmac_f64_e32 v[150:151], s[18:19], v[198:199]
	v_add_f64 v[116:117], v[154:155], v[116:117]
	v_mul_f64 v[154:155], v[188:189], s[34:35]
	v_fma_f64 v[158:159], s[16:17], v[178:179], v[156:157]
	v_add_f64 v[162:163], v[162:163], v[166:167]
	v_mul_f64 v[246:247], v[228:229], s[40:41]
	v_fma_f64 v[252:253], v[210:211], s[14:15], -v[250:251]
	v_add_f64 v[0:1], v[0:1], v[120:121]
	v_add_f64 v[144:145], v[150:151], v[116:117]
	v_mul_f64 v[152:153], v[184:185], s[56:57]
	v_fma_f64 v[150:151], s[24:25], v[176:177], v[154:155]
	v_add_f64 v[158:159], v[158:159], v[162:163]
	v_mul_f64 v[242:243], v[226:227], s[52:53]
	v_fma_f64 v[248:249], v[206:207], s[26:27], -v[246:247]
	v_add_f64 v[0:1], v[252:253], v[0:1]
	v_mul_f64 v[116:117], v[180:181], s[46:47]
	v_fma_f64 v[148:149], s[18:19], v[174:175], v[152:153]
	v_add_f64 v[150:151], v[150:151], v[158:159]
	v_mul_f64 v[166:167], v[224:225], s[34:35]
	v_fma_f64 v[244:245], v[204:205], s[16:17], -v[242:243]
	v_add_f64 v[0:1], v[248:249], v[0:1]
	v_fma_f64 v[118:119], s[20:21], v[172:173], v[116:117]
	v_add_f64 v[148:149], v[148:149], v[150:151]
	v_mul_f64 v[158:159], v[222:223], s[56:57]
	v_fma_f64 v[238:239], v[202:203], s[24:25], -v[166:167]
	v_add_f64 v[0:1], v[244:245], v[0:1]
	v_add_f64 v[150:151], v[118:119], v[148:149]
	v_mul_f64 v[118:119], v[220:221], s[46:47]
	v_fma_f64 v[162:163], v[200:201], s[18:19], -v[158:159]
	v_add_f64 v[0:1], v[238:239], v[0:1]
	v_fma_f64 v[148:149], v[198:199], s[20:21], -v[118:119]
	v_add_f64 v[0:1], v[162:163], v[0:1]
	v_add_f64 v[148:149], v[148:149], v[0:1]
	v_fma_f64 v[0:1], v[172:173], s[20:21], -v[116:117]
	v_fma_f64 v[116:117], v[174:175], s[18:19], -v[152:153]
	;; [unrolled: 1-line block ×6, first 2 shown]
	v_add_f64 v[160:161], v[90:91], v[160:161]
	v_fma_f64 v[120:121], v[176:177], s[24:25], -v[154:155]
	v_fma_f64 v[154:155], v[186:187], s[14:15], -v[164:165]
	v_add_f64 v[156:157], v[156:157], v[160:161]
	v_add_f64 v[154:155], v[154:155], v[156:157]
	;; [unrolled: 1-line block ×6, first 2 shown]
	v_fmac_f64_e32 v[2:3], s[10:11], v[214:215]
	v_add_f64 v[154:155], v[0:1], v[116:117]
	v_fmac_f64_e32 v[254:255], s[30:31], v[212:213]
	v_add_f64 v[0:1], v[88:89], v[2:3]
	;; [unrolled: 2-line block ×5, first 2 shown]
	v_mul_f64 v[240:241], v[218:219], s[52:53]
	v_add_f64 v[0:1], v[242:243], v[0:1]
	s_mov_b32 s51, 0x3fc7851a
	s_mov_b32 s50, s36
	v_mul_f64 v[170:171], v[216:217], s[28:29]
	v_fma_f64 v[242:243], s[16:17], v[194:195], v[240:241]
	v_mov_b64_e32 v[22:23], v[8:9]
	v_fmac_f64_e32 v[166:167], s[24:25], v[202:203]
	v_mul_f64 v[164:165], v[208:209], s[50:51]
	v_fma_f64 v[238:239], s[18:19], v[190:191], v[170:171]
	v_add_f64 v[242:243], v[90:91], v[242:243]
	v_mov_b64_e32 v[20:21], v[6:7]
	v_mul_f64 v[6:7], v[234:235], s[52:53]
	v_fmac_f64_e32 v[158:159], s[18:19], v[200:201]
	v_add_f64 v[0:1], v[166:167], v[0:1]
	v_mul_f64 v[162:163], v[196:197], s[54:55]
	v_fma_f64 v[166:167], s[30:31], v[186:187], v[164:165]
	v_add_f64 v[238:239], v[238:239], v[242:243]
	v_mul_f64 v[254:255], v[232:233], s[28:29]
	v_fma_f64 v[124:125], v[214:215], s[16:17], -v[6:7]
	v_add_f64 v[0:1], v[158:159], v[0:1]
	v_mul_f64 v[160:161], v[192:193], s[46:47]
	v_fma_f64 v[158:159], s[14:15], v[182:183], v[162:163]
	v_add_f64 v[166:167], v[166:167], v[238:239]
	v_mul_f64 v[250:251], v[230:231], s[50:51]
	v_fma_f64 v[4:5], v[212:213], s[18:19], -v[254:255]
	;; [unrolled: 6-line block ×3, first 2 shown]
	v_add_f64 v[4:5], v[4:5], v[124:125]
	v_fmac_f64_e32 v[118:119], s[20:21], v[198:199]
	v_mul_f64 v[116:117], v[184:185], s[44:45]
	v_fma_f64 v[122:123], s[26:27], v[176:177], v[120:121]
	v_add_f64 v[156:157], v[156:157], v[158:159]
	v_mul_f64 v[242:243], v[226:227], s[46:47]
	v_fma_f64 v[248:249], v[206:207], s[14:15], -v[246:247]
	v_add_f64 v[4:5], v[252:253], v[4:5]
	v_add_f64 v[152:153], v[118:119], v[0:1]
	v_mul_f64 v[0:1], v[180:181], s[34:35]
	v_fma_f64 v[118:119], s[10:11], v[174:175], v[116:117]
	v_add_f64 v[122:123], v[122:123], v[156:157]
	v_mul_f64 v[238:239], v[224:225], s[42:43]
	v_fma_f64 v[244:245], v[204:205], s[20:21], -v[242:243]
	v_add_f64 v[4:5], v[248:249], v[4:5]
	v_fma_f64 v[2:3], s[24:25], v[172:173], v[0:1]
	v_add_f64 v[118:119], v[118:119], v[122:123]
	v_mul_f64 v[122:123], v[222:223], s[44:45]
	v_fma_f64 v[166:167], v[202:203], s[26:27], -v[238:239]
	v_add_f64 v[4:5], v[244:245], v[4:5]
	v_add_f64 v[158:159], v[2:3], v[118:119]
	v_mul_f64 v[2:3], v[220:221], s[34:35]
	v_fma_f64 v[156:157], v[200:201], s[10:11], -v[122:123]
	v_add_f64 v[4:5], v[166:167], v[4:5]
	v_fma_f64 v[118:119], v[198:199], s[24:25], -v[2:3]
	v_add_f64 v[4:5], v[156:157], v[4:5]
	v_add_f64 v[156:157], v[118:119], v[4:5]
	v_fma_f64 v[118:119], v[178:179], s[20:21], -v[160:161]
	v_fma_f64 v[160:161], v[194:195], s[16:17], -v[240:241]
	;; [unrolled: 1-line block ×3, first 2 shown]
	v_add_f64 v[160:161], v[90:91], v[160:161]
	v_fma_f64 v[124:125], v[186:187], s[30:31], -v[164:165]
	v_add_f64 v[126:127], v[126:127], v[160:161]
	v_fma_f64 v[4:5], v[174:175], s[10:11], -v[116:117]
	v_fma_f64 v[116:117], v[176:177], s[26:27], -v[120:121]
	;; [unrolled: 1-line block ×3, first 2 shown]
	v_add_f64 v[124:125], v[124:125], v[126:127]
	v_add_f64 v[120:121], v[120:121], v[124:125]
	;; [unrolled: 1-line block ×4, first 2 shown]
	v_fma_f64 v[0:1], v[172:173], s[24:25], -v[0:1]
	v_add_f64 v[4:5], v[4:5], v[116:117]
	v_fmac_f64_e32 v[6:7], s[16:17], v[214:215]
	v_add_f64 v[166:167], v[0:1], v[4:5]
	v_fmac_f64_e32 v[254:255], s[18:19], v[212:213]
	;; [unrolled: 2-line block ×6, first 2 shown]
	v_add_f64 v[0:1], v[242:243], v[0:1]
	v_mul_f64 v[240:241], v[218:219], s[48:49]
	v_add_f64 v[0:1], v[238:239], v[0:1]
	v_mul_f64 v[238:239], v[216:217], s[44:45]
	v_fma_f64 v[242:243], s[20:21], v[194:195], v[240:241]
	v_mul_f64 v[170:171], v[208:209], s[28:29]
	v_fma_f64 v[162:163], s[10:11], v[190:191], v[238:239]
	v_add_f64 v[242:243], v[90:91], v[242:243]
	v_mul_f64 v[10:11], v[234:235], s[48:49]
	v_mul_f64 v[124:125], v[196:197], s[36:37]
	v_fma_f64 v[160:161], s[18:19], v[186:187], v[170:171]
	v_add_f64 v[162:163], v[162:163], v[242:243]
	v_mul_f64 v[254:255], v[232:233], s[44:45]
	v_fma_f64 v[128:129], v[214:215], s[20:21], -v[10:11]
	v_fmac_f64_e32 v[122:123], s[10:11], v[200:201]
	v_mul_f64 v[120:121], v[192:193], s[58:59]
	v_fma_f64 v[126:127], s[30:31], v[182:183], v[124:125]
	v_add_f64 v[160:161], v[160:161], v[162:163]
	v_mul_f64 v[250:251], v[230:231], s[28:29]
	v_fma_f64 v[8:9], v[212:213], s[10:11], -v[254:255]
	v_add_f64 v[128:129], v[88:89], v[128:129]
	v_add_f64 v[0:1], v[122:123], v[0:1]
	v_mul_f64 v[116:117], v[188:189], s[54:55]
	v_fma_f64 v[122:123], s[24:25], v[178:179], v[120:121]
	v_add_f64 v[126:127], v[126:127], v[160:161]
	v_mul_f64 v[246:247], v[228:229], s[36:37]
	v_fma_f64 v[252:253], v[210:211], s[18:19], -v[250:251]
	v_add_f64 v[8:9], v[8:9], v[128:129]
	v_fmac_f64_e32 v[2:3], s[24:25], v[198:199]
	v_mul_f64 v[4:5], v[184:185], s[38:39]
	v_fma_f64 v[118:119], s[14:15], v[176:177], v[116:117]
	v_add_f64 v[122:123], v[122:123], v[126:127]
	v_mul_f64 v[242:243], v[226:227], s[58:59]
	v_fma_f64 v[248:249], v[206:207], s[30:31], -v[246:247]
	v_add_f64 v[8:9], v[252:253], v[8:9]
	v_add_f64 v[164:165], v[2:3], v[0:1]
	v_mul_f64 v[0:1], v[180:181], s[40:41]
	v_fma_f64 v[6:7], s[16:17], v[174:175], v[4:5]
	v_add_f64 v[118:119], v[118:119], v[122:123]
	v_mul_f64 v[126:127], v[224:225], s[54:55]
	v_fma_f64 v[244:245], v[204:205], s[24:25], -v[242:243]
	v_add_f64 v[8:9], v[248:249], v[8:9]
	v_fma_f64 v[2:3], s[26:27], v[172:173], v[0:1]
	v_add_f64 v[6:7], v[6:7], v[118:119]
	v_mul_f64 v[118:119], v[222:223], s[38:39]
	v_fma_f64 v[160:161], v[202:203], s[14:15], -v[126:127]
	v_add_f64 v[8:9], v[244:245], v[8:9]
	v_add_f64 v[162:163], v[2:3], v[6:7]
	v_mul_f64 v[2:3], v[220:221], s[40:41]
	v_fma_f64 v[122:123], v[200:201], s[16:17], -v[118:119]
	v_add_f64 v[8:9], v[160:161], v[8:9]
	v_fma_f64 v[6:7], v[198:199], s[26:27], -v[2:3]
	v_add_f64 v[8:9], v[122:123], v[8:9]
	v_add_f64 v[160:161], v[6:7], v[8:9]
	v_fma_f64 v[6:7], v[176:177], s[14:15], -v[116:117]
	v_fma_f64 v[116:117], v[182:183], s[30:31], -v[124:125]
	v_fma_f64 v[124:125], v[194:195], s[20:21], -v[240:241]
	v_fma_f64 v[122:123], v[190:191], s[10:11], -v[238:239]
	v_add_f64 v[124:125], v[90:91], v[124:125]
	v_fma_f64 v[8:9], v[178:179], s[24:25], -v[120:121]
	v_fma_f64 v[120:121], v[186:187], s[18:19], -v[170:171]
	v_add_f64 v[122:123], v[122:123], v[124:125]
	v_add_f64 v[120:121], v[120:121], v[122:123]
	v_add_f64 v[116:117], v[116:117], v[120:121]
	v_add_f64 v[8:9], v[8:9], v[116:117]
	v_fma_f64 v[4:5], v[174:175], s[16:17], -v[4:5]
	v_add_f64 v[6:7], v[6:7], v[8:9]
	v_fma_f64 v[0:1], v[172:173], s[26:27], -v[0:1]
	v_add_f64 v[4:5], v[4:5], v[6:7]
	v_fmac_f64_e32 v[10:11], s[20:21], v[214:215]
	v_add_f64 v[240:241], v[0:1], v[4:5]
	v_fmac_f64_e32 v[254:255], s[10:11], v[212:213]
	;; [unrolled: 2-line block ×8, first 2 shown]
	v_add_f64 v[0:1], v[118:119], v[0:1]
	v_mul_f64 v[170:171], v[218:219], s[42:43]
	v_add_f64 v[238:239], v[2:3], v[0:1]
	v_mul_f64 v[0:1], v[180:181], s[36:37]
	v_mul_f64 v[128:129], v[216:217], s[48:49]
	v_fma_f64 v[180:181], s[26:27], v[194:195], v[170:171]
	v_mul_f64 v[124:125], v[208:209], s[52:53]
	v_fma_f64 v[130:131], s[20:21], v[190:191], v[128:129]
	v_add_f64 v[180:181], v[90:91], v[180:181]
	v_mul_f64 v[120:121], v[196:197], s[44:45]
	v_fma_f64 v[126:127], s[16:17], v[186:187], v[124:125]
	v_add_f64 v[130:131], v[130:131], v[180:181]
	v_mul_f64 v[116:117], v[192:193], s[22:23]
	v_fma_f64 v[122:123], s[10:11], v[182:183], v[120:121]
	v_add_f64 v[126:127], v[126:127], v[130:131]
	v_mul_f64 v[8:9], v[188:189], s[28:29]
	v_fma_f64 v[118:119], s[14:15], v[178:179], v[116:117]
	v_add_f64 v[122:123], v[122:123], v[126:127]
	v_mul_f64 v[4:5], v[184:185], s[34:35]
	v_fma_f64 v[10:11], s[18:19], v[176:177], v[8:9]
	v_add_f64 v[118:119], v[118:119], v[122:123]
	v_fma_f64 v[6:7], s[24:25], v[174:175], v[4:5]
	v_add_f64 v[10:11], v[10:11], v[118:119]
	v_fma_f64 v[2:3], s[30:31], v[172:173], v[0:1]
	v_add_f64 v[6:7], v[6:7], v[10:11]
	v_add_f64 v[218:219], v[2:3], v[6:7]
	v_mul_f64 v[2:3], v[220:221], s[36:37]
	v_mul_f64 v[220:221], v[234:235], s[42:43]
	v_mul_f64 v[10:11], v[222:223], s[34:35]
	v_mul_f64 v[208:209], v[232:233], s[48:49]
	v_fma_f64 v[222:223], v[214:215], s[26:27], -v[220:221]
	v_mul_f64 v[192:193], v[230:231], s[52:53]
	v_fma_f64 v[216:217], v[212:213], s[20:21], -v[208:209]
	v_add_f64 v[222:223], v[88:89], v[222:223]
	v_mul_f64 v[184:185], v[228:229], s[44:45]
	v_fma_f64 v[196:197], v[210:211], s[16:17], -v[192:193]
	v_add_f64 v[216:217], v[216:217], v[222:223]
	;; [unrolled: 3-line block ×4, first 2 shown]
	v_fma_f64 v[126:127], v[202:203], s[18:19], -v[122:123]
	v_add_f64 v[180:181], v[180:181], v[188:189]
	v_fma_f64 v[118:119], v[200:201], s[24:25], -v[10:11]
	v_add_f64 v[126:127], v[126:127], v[180:181]
	;; [unrolled: 2-line block ×3, first 2 shown]
	v_add_f64 v[216:217], v[6:7], v[118:119]
	v_fma_f64 v[118:119], v[186:187], s[16:17], -v[124:125]
	v_fma_f64 v[124:125], v[194:195], s[26:27], -v[170:171]
	;; [unrolled: 1-line block ×6, first 2 shown]
	v_add_f64 v[124:125], v[90:91], v[124:125]
	v_add_f64 v[120:121], v[120:121], v[124:125]
	;; [unrolled: 1-line block ×5, first 2 shown]
	v_fma_f64 v[4:5], v[174:175], s[24:25], -v[4:5]
	v_add_f64 v[6:7], v[6:7], v[8:9]
	v_fma_f64 v[0:1], v[172:173], s[30:31], -v[0:1]
	v_add_f64 v[4:5], v[4:5], v[6:7]
	v_fmac_f64_e32 v[220:221], s[26:27], v[214:215]
	v_add_f64 v[174:175], v[0:1], v[4:5]
	v_fmac_f64_e32 v[208:209], s[20:21], v[212:213]
	;; [unrolled: 2-line block ×8, first 2 shown]
	v_add_f64 v[0:1], v[10:11], v[0:1]
	v_add_f64 v[172:173], v[2:3], v[0:1]
	;; [unrolled: 1-line block ×10, first 2 shown]
	v_accvgpr_read_b32 v4, a10
	v_add_f64 v[0:1], v[0:1], v[26:27]
	v_accvgpr_read_b32 v6, a12
	v_accvgpr_read_b32 v7, a13
	v_add_f64 v[0:1], v[0:1], v[6:7]
	v_accvgpr_read_b32 v6, a14
	v_accvgpr_read_b32 v8, a16
	;; [unrolled: 1-line block ×3, first 2 shown]
	v_add_f64 v[0:1], v[0:1], v[8:9]
	v_accvgpr_read_b32 v8, a18
	v_accvgpr_read_b32 v10, a20
	;; [unrolled: 1-line block ×3, first 2 shown]
	v_add_f64 v[0:1], v[0:1], v[10:11]
	v_add_f64 v[0:1], v[0:1], v[30:31]
	;; [unrolled: 1-line block ×13, first 2 shown]
	v_accvgpr_read_b32 v5, a11
	v_add_f64 v[0:1], v[0:1], v[24:25]
	v_accvgpr_read_b32 v7, a15
	v_add_f64 v[0:1], v[0:1], v[4:5]
	;; [unrolled: 2-line block ×3, first 2 shown]
	v_add_f64 v[0:1], v[0:1], v[8:9]
	v_add_f64 v[0:1], v[0:1], v[28:29]
	;; [unrolled: 1-line block ×5, first 2 shown]
	v_lshlrev_b32_e32 v4, 4, v237
	ds_write_b128 v4, v[0:3]
	ds_write_b128 v4, v[172:175] offset:16
	ds_write_b128 v4, v[238:241] offset:32
	;; [unrolled: 1-line block ×16, first 2 shown]
.LBB0_13:
	s_or_b64 exec, exec, s[0:1]
	s_waitcnt lgkmcnt(0)
	s_barrier
	ds_read_b128 v[0:3], v168
	ds_read_b128 v[4:7], v168 offset:1904
	ds_read_b128 v[8:11], v168 offset:3808
	;; [unrolled: 1-line block ×6, first 2 shown]
	s_waitcnt lgkmcnt(5)
	v_mul_f64 v[28:29], v[50:51], v[6:7]
	v_fmac_f64_e32 v[28:29], v[48:49], v[4:5]
	v_mul_f64 v[4:5], v[50:51], v[4:5]
	v_fma_f64 v[4:5], v[48:49], v[6:7], -v[4:5]
	s_waitcnt lgkmcnt(4)
	v_mul_f64 v[6:7], v[46:47], v[10:11]
	v_fmac_f64_e32 v[6:7], v[44:45], v[8:9]
	v_mul_f64 v[8:9], v[46:47], v[8:9]
	v_fma_f64 v[8:9], v[44:45], v[10:11], -v[8:9]
	;; [unrolled: 5-line block ×6, first 2 shown]
	v_add_f64 v[26:27], v[28:29], v[22:23]
	v_add_f64 v[30:31], v[4:5], v[24:25]
	v_add_f64 v[4:5], v[4:5], -v[24:25]
	v_add_f64 v[24:25], v[6:7], v[18:19]
	v_add_f64 v[22:23], v[28:29], -v[22:23]
	;; [unrolled: 2-line block ×6, first 2 shown]
	v_add_f64 v[16:17], v[28:29], v[30:31]
	v_add_f64 v[14:15], v[18:19], v[14:15]
	;; [unrolled: 1-line block ×4, first 2 shown]
	s_mov_b32 s10, 0x37e14327
	s_mov_b32 s0, 0x36b3c0b5
	;; [unrolled: 1-line block ×5, first 2 shown]
	v_add_f64 v[32:33], v[24:25], -v[26:27]
	v_add_f64 v[34:35], v[28:29], -v[30:31]
	;; [unrolled: 1-line block ×6, first 2 shown]
	v_add_f64 v[36:37], v[10:11], v[6:7]
	v_add_f64 v[38:39], v[12:13], v[8:9]
	v_add_f64 v[40:41], v[10:11], -v[6:7]
	v_add_f64 v[42:43], v[12:13], -v[8:9]
	;; [unrolled: 1-line block ×4, first 2 shown]
	v_add_f64 v[2:3], v[2:3], v[16:17]
	s_mov_b32 s11, 0x3fe948f6
	s_mov_b32 s1, 0x3fac98ee
	;; [unrolled: 1-line block ×5, first 2 shown]
	v_mov_b64_e32 v[44:45], v[0:1]
	s_mov_b32 s20, 0x5476071b
	s_mov_b32 s24, 0xb247c609
	v_add_f64 v[10:11], v[22:23], -v[10:11]
	v_add_f64 v[12:13], v[4:5], -v[12:13]
	v_add_f64 v[18:19], v[36:37], v[22:23]
	v_add_f64 v[4:5], v[38:39], v[4:5]
	v_mul_f64 v[20:21], v[26:27], s[10:11]
	v_mul_f64 v[22:23], v[30:31], s[10:11]
	;; [unrolled: 1-line block ×8, first 2 shown]
	v_fmac_f64_e32 v[44:45], s[18:19], v[14:15]
	v_mov_b64_e32 v[14:15], v[2:3]
	s_mov_b32 s21, 0x3fe77f67
	s_mov_b32 s23, 0xbfe77f67
	;; [unrolled: 1-line block ×7, first 2 shown]
	v_fmac_f64_e32 v[14:15], s[18:19], v[16:17]
	v_fma_f64 v[16:17], v[32:33], s[20:21], -v[26:27]
	v_fma_f64 v[26:27], v[34:35], s[20:21], -v[30:31]
	;; [unrolled: 1-line block ×3, first 2 shown]
	v_fmac_f64_e32 v[20:21], s[0:1], v[24:25]
	v_fma_f64 v[24:25], v[34:35], s[22:23], -v[22:23]
	v_fmac_f64_e32 v[22:23], s[0:1], v[28:29]
	v_fma_f64 v[28:29], v[6:7], s[14:15], -v[36:37]
	v_fmac_f64_e32 v[36:37], s[24:25], v[10:11]
	v_fma_f64 v[32:33], v[8:9], s[14:15], -v[38:39]
	v_fmac_f64_e32 v[38:39], s[24:25], v[12:13]
	v_fma_f64 v[34:35], v[10:11], s[28:29], -v[40:41]
	v_fma_f64 v[40:41], v[12:13], s[28:29], -v[42:43]
	s_mov_b32 s27, 0xbfdc38aa
	v_add_f64 v[42:43], v[20:21], v[44:45]
	v_add_f64 v[46:47], v[22:23], v[14:15]
	;; [unrolled: 1-line block ×6, first 2 shown]
	v_fmac_f64_e32 v[36:37], s[26:27], v[18:19]
	v_fmac_f64_e32 v[38:39], s[26:27], v[4:5]
	;; [unrolled: 1-line block ×6, first 2 shown]
	v_add_f64 v[4:5], v[38:39], v[42:43]
	v_add_f64 v[6:7], v[46:47], -v[36:37]
	v_add_f64 v[8:9], v[40:41], v[22:23]
	v_add_f64 v[10:11], v[24:25], -v[34:35]
	v_add_f64 v[12:13], v[16:17], -v[32:33]
	v_add_f64 v[14:15], v[28:29], v[20:21]
	v_add_f64 v[16:17], v[32:33], v[16:17]
	v_add_f64 v[18:19], v[20:21], -v[28:29]
	v_add_f64 v[20:21], v[22:23], -v[40:41]
	v_add_f64 v[22:23], v[34:35], v[24:25]
	v_add_f64 v[24:25], v[42:43], -v[38:39]
	v_add_f64 v[26:27], v[36:37], v[46:47]
	s_barrier
	ds_write_b128 v236, v[0:3]
	ds_write_b128 v236, v[4:7] offset:272
	ds_write_b128 v236, v[8:11] offset:544
	;; [unrolled: 1-line block ×6, first 2 shown]
	s_waitcnt lgkmcnt(0)
	s_barrier
	ds_read_b128 v[0:3], v168
	ds_read_b128 v[4:7], v168 offset:1904
	ds_read_b128 v[8:11], v168 offset:3808
	;; [unrolled: 1-line block ×6, first 2 shown]
	s_waitcnt lgkmcnt(5)
	v_mul_f64 v[28:29], v[78:79], v[6:7]
	v_fmac_f64_e32 v[28:29], v[76:77], v[4:5]
	v_mul_f64 v[4:5], v[78:79], v[4:5]
	v_fma_f64 v[4:5], v[76:77], v[6:7], -v[4:5]
	s_waitcnt lgkmcnt(4)
	v_mul_f64 v[6:7], v[74:75], v[10:11]
	v_fmac_f64_e32 v[6:7], v[72:73], v[8:9]
	v_mul_f64 v[8:9], v[74:75], v[8:9]
	v_fma_f64 v[8:9], v[72:73], v[10:11], -v[8:9]
	;; [unrolled: 5-line block ×6, first 2 shown]
	v_add_f64 v[26:27], v[28:29], v[22:23]
	v_add_f64 v[30:31], v[4:5], v[24:25]
	v_add_f64 v[4:5], v[4:5], -v[24:25]
	v_add_f64 v[24:25], v[6:7], v[18:19]
	v_add_f64 v[22:23], v[28:29], -v[22:23]
	v_add_f64 v[28:29], v[8:9], v[20:21]
	v_add_f64 v[6:7], v[6:7], -v[18:19]
	v_add_f64 v[18:19], v[10:11], v[14:15]
	v_add_f64 v[10:11], v[14:15], -v[10:11]
	v_add_f64 v[14:15], v[24:25], v[26:27]
	v_add_f64 v[8:9], v[8:9], -v[20:21]
	v_add_f64 v[20:21], v[12:13], v[16:17]
	v_add_f64 v[12:13], v[16:17], -v[12:13]
	v_add_f64 v[16:17], v[28:29], v[30:31]
	v_add_f64 v[14:15], v[18:19], v[14:15]
	;; [unrolled: 1-line block ×4, first 2 shown]
	v_add_f64 v[32:33], v[24:25], -v[26:27]
	v_add_f64 v[34:35], v[28:29], -v[30:31]
	;; [unrolled: 1-line block ×6, first 2 shown]
	v_add_f64 v[36:37], v[10:11], v[6:7]
	v_add_f64 v[38:39], v[12:13], v[8:9]
	v_add_f64 v[40:41], v[10:11], -v[6:7]
	v_add_f64 v[42:43], v[12:13], -v[8:9]
	;; [unrolled: 1-line block ×4, first 2 shown]
	v_add_f64 v[2:3], v[2:3], v[16:17]
	v_mov_b64_e32 v[44:45], v[0:1]
	v_add_f64 v[10:11], v[22:23], -v[10:11]
	v_add_f64 v[12:13], v[4:5], -v[12:13]
	v_add_f64 v[18:19], v[36:37], v[22:23]
	v_add_f64 v[4:5], v[38:39], v[4:5]
	v_mul_f64 v[20:21], v[26:27], s[10:11]
	v_mul_f64 v[22:23], v[30:31], s[10:11]
	;; [unrolled: 1-line block ×8, first 2 shown]
	v_fmac_f64_e32 v[44:45], s[18:19], v[14:15]
	v_mov_b64_e32 v[14:15], v[2:3]
	v_fmac_f64_e32 v[14:15], s[18:19], v[16:17]
	v_fma_f64 v[16:17], s[0:1], v[24:25], v[20:21]
	v_fma_f64 v[24:25], v[32:33], s[20:21], -v[26:27]
	v_fma_f64 v[26:27], v[34:35], s[20:21], -v[30:31]
	v_fma_f64 v[20:21], v[32:33], s[22:23], -v[20:21]
	v_fma_f64 v[30:31], v[34:35], s[22:23], -v[22:23]
	v_fmac_f64_e32 v[22:23], s[0:1], v[28:29]
	v_fma_f64 v[28:29], s[24:25], v[10:11], v[36:37]
	v_fma_f64 v[32:33], v[6:7], s[14:15], -v[36:37]
	v_fma_f64 v[34:35], v[8:9], s[14:15], -v[38:39]
	v_fmac_f64_e32 v[38:39], s[24:25], v[12:13]
	v_fma_f64 v[36:37], v[10:11], s[28:29], -v[40:41]
	v_fma_f64 v[40:41], v[12:13], s[28:29], -v[42:43]
	v_add_f64 v[42:43], v[16:17], v[44:45]
	v_add_f64 v[46:47], v[22:23], v[14:15]
	;; [unrolled: 1-line block ×6, first 2 shown]
	v_fmac_f64_e32 v[28:29], s[26:27], v[18:19]
	v_fmac_f64_e32 v[38:39], s[26:27], v[4:5]
	;; [unrolled: 1-line block ×6, first 2 shown]
	v_add_f64 v[4:5], v[38:39], v[42:43]
	v_add_f64 v[6:7], v[46:47], -v[28:29]
	v_add_f64 v[8:9], v[40:41], v[20:21]
	v_add_f64 v[10:11], v[24:25], -v[36:37]
	v_add_f64 v[12:13], v[16:17], -v[34:35]
	v_add_f64 v[14:15], v[32:33], v[22:23]
	v_add_f64 v[16:17], v[34:35], v[16:17]
	v_add_f64 v[18:19], v[22:23], -v[32:33]
	v_add_f64 v[20:21], v[20:21], -v[40:41]
	v_add_f64 v[22:23], v[36:37], v[24:25]
	v_add_f64 v[24:25], v[42:43], -v[38:39]
	v_add_f64 v[26:27], v[28:29], v[46:47]
	ds_write_b128 v168, v[0:3]
	ds_write_b128 v168, v[4:7] offset:1904
	ds_write_b128 v168, v[8:11] offset:3808
	;; [unrolled: 1-line block ×6, first 2 shown]
	s_waitcnt lgkmcnt(0)
	s_barrier
	s_and_b64 exec, exec, s[2:3]
	s_cbranch_execz .LBB0_15
; %bb.14:
	global_load_dwordx4 v[0:3], v168, s[8:9]
	v_accvgpr_read_b32 v26, a0
	v_mad_u64_u32 v[14:15], s[0:1], s6, v26, 0
	ds_read_b128 v[4:7], v168
	ds_read_b128 v[8:11], v168 offset:784
	ds_read_b128 v[18:21], v168 offset:12544
	v_mov_b32_e32 v22, v15
	v_mad_u64_u32 v[16:17], s[2:3], s4, v169, 0
	v_mad_u64_u32 v[22:23], s[2:3], s7, v26, v[22:23]
	v_mov_b32_e32 v12, s12
	v_mov_b32_e32 v13, s13
	;; [unrolled: 1-line block ×4, first 2 shown]
	s_mov_b32 s0, 0xca869b81
	v_mad_u64_u32 v[24:25], s[2:3], s5, v169, v[24:25]
	v_lshl_add_u64 v[12:13], v[14:15], 4, v[12:13]
	s_mov_b32 s1, 0x3f53ab2d
	v_mov_b32_e32 v17, v24
	v_lshl_add_u64 v[12:13], v[16:17], 4, v[12:13]
	v_mov_b32_e32 v24, 0x310
	s_mul_i32 s2, s5, 0x310
	v_mov_b32_e32 v169, 0
	s_movk_i32 s3, 0x1000
	s_waitcnt vmcnt(0) lgkmcnt(2)
	v_mul_f64 v[14:15], v[6:7], v[2:3]
	v_mul_f64 v[2:3], v[4:5], v[2:3]
	v_fmac_f64_e32 v[14:15], v[4:5], v[0:1]
	v_fma_f64 v[2:3], v[0:1], v[6:7], -v[2:3]
	v_mul_f64 v[0:1], v[14:15], s[0:1]
	v_mul_f64 v[2:3], v[2:3], s[0:1]
	global_store_dwordx4 v[12:13], v[0:3], off
	global_load_dwordx4 v[0:3], v168, s[8:9] offset:784
	v_mad_u64_u32 v[12:13], s[6:7], s4, v24, v[12:13]
	v_add_u32_e32 v13, s2, v13
	s_waitcnt vmcnt(0) lgkmcnt(1)
	v_mul_f64 v[4:5], v[10:11], v[2:3]
	v_mul_f64 v[2:3], v[8:9], v[2:3]
	v_fmac_f64_e32 v[4:5], v[8:9], v[0:1]
	v_fma_f64 v[2:3], v[0:1], v[10:11], -v[2:3]
	v_mul_f64 v[0:1], v[4:5], s[0:1]
	v_mul_f64 v[2:3], v[2:3], s[0:1]
	global_store_dwordx4 v[12:13], v[0:3], off
	global_load_dwordx4 v[0:3], v168, s[8:9] offset:1568
	ds_read_b128 v[4:7], v168 offset:1568
	ds_read_b128 v[8:11], v168 offset:2352
	v_mad_u64_u32 v[12:13], s[6:7], s4, v24, v[12:13]
	v_add_u32_e32 v13, s2, v13
	s_waitcnt vmcnt(0) lgkmcnt(1)
	v_mul_f64 v[14:15], v[6:7], v[2:3]
	v_mul_f64 v[2:3], v[4:5], v[2:3]
	v_fmac_f64_e32 v[14:15], v[4:5], v[0:1]
	v_fma_f64 v[2:3], v[0:1], v[6:7], -v[2:3]
	v_mul_f64 v[0:1], v[14:15], s[0:1]
	v_mul_f64 v[2:3], v[2:3], s[0:1]
	global_store_dwordx4 v[12:13], v[0:3], off
	global_load_dwordx4 v[0:3], v168, s[8:9] offset:2352
	v_mad_u64_u32 v[12:13], s[6:7], s4, v24, v[12:13]
	v_add_u32_e32 v13, s2, v13
	s_waitcnt vmcnt(0) lgkmcnt(0)
	v_mul_f64 v[4:5], v[10:11], v[2:3]
	v_mul_f64 v[2:3], v[8:9], v[2:3]
	v_fmac_f64_e32 v[4:5], v[8:9], v[0:1]
	v_fma_f64 v[2:3], v[0:1], v[10:11], -v[2:3]
	v_mul_f64 v[0:1], v[4:5], s[0:1]
	v_mul_f64 v[2:3], v[2:3], s[0:1]
	global_store_dwordx4 v[12:13], v[0:3], off
	global_load_dwordx4 v[0:3], v168, s[8:9] offset:3136
	ds_read_b128 v[4:7], v168 offset:3136
	ds_read_b128 v[8:11], v168 offset:3920
	v_mad_u64_u32 v[12:13], s[6:7], s4, v24, v[12:13]
	v_add_u32_e32 v13, s2, v13
	s_waitcnt vmcnt(0) lgkmcnt(1)
	v_mul_f64 v[14:15], v[6:7], v[2:3]
	v_mul_f64 v[2:3], v[4:5], v[2:3]
	v_fmac_f64_e32 v[14:15], v[4:5], v[0:1]
	v_fma_f64 v[2:3], v[0:1], v[6:7], -v[2:3]
	v_mul_f64 v[0:1], v[14:15], s[0:1]
	v_mul_f64 v[2:3], v[2:3], s[0:1]
	global_store_dwordx4 v[12:13], v[0:3], off
	global_load_dwordx4 v[0:3], v168, s[8:9] offset:3920
	v_lshl_add_u64 v[14:15], s[8:9], 0, v[168:169]
	v_mad_u64_u32 v[12:13], s[6:7], s4, v24, v[12:13]
	v_add_co_u32_e32 v16, vcc, s3, v14
	v_add_u32_e32 v13, s2, v13
	s_nop 0
	v_addc_co_u32_e32 v17, vcc, 0, v15, vcc
	s_movk_i32 s3, 0x2000
	s_waitcnt vmcnt(0) lgkmcnt(0)
	v_mul_f64 v[4:5], v[10:11], v[2:3]
	v_mul_f64 v[2:3], v[8:9], v[2:3]
	v_fmac_f64_e32 v[4:5], v[8:9], v[0:1]
	v_fma_f64 v[2:3], v[0:1], v[10:11], -v[2:3]
	v_mul_f64 v[0:1], v[4:5], s[0:1]
	v_mul_f64 v[2:3], v[2:3], s[0:1]
	global_store_dwordx4 v[12:13], v[0:3], off
	global_load_dwordx4 v[0:3], v[16:17], off offset:608
	ds_read_b128 v[4:7], v168 offset:4704
	ds_read_b128 v[8:11], v168 offset:5488
	v_mad_u64_u32 v[12:13], s[6:7], s4, v24, v[12:13]
	v_add_u32_e32 v13, s2, v13
	s_waitcnt vmcnt(0) lgkmcnt(1)
	v_mul_f64 v[22:23], v[6:7], v[2:3]
	v_mul_f64 v[2:3], v[4:5], v[2:3]
	v_fmac_f64_e32 v[22:23], v[4:5], v[0:1]
	v_fma_f64 v[2:3], v[0:1], v[6:7], -v[2:3]
	v_mul_f64 v[0:1], v[22:23], s[0:1]
	v_mul_f64 v[2:3], v[2:3], s[0:1]
	global_store_dwordx4 v[12:13], v[0:3], off
	global_load_dwordx4 v[0:3], v[16:17], off offset:1392
	v_mad_u64_u32 v[12:13], s[6:7], s4, v24, v[12:13]
	v_add_u32_e32 v13, s2, v13
	s_waitcnt vmcnt(0) lgkmcnt(0)
	v_mul_f64 v[4:5], v[10:11], v[2:3]
	v_mul_f64 v[2:3], v[8:9], v[2:3]
	v_fmac_f64_e32 v[4:5], v[8:9], v[0:1]
	v_fma_f64 v[2:3], v[0:1], v[10:11], -v[2:3]
	v_mul_f64 v[0:1], v[4:5], s[0:1]
	v_mul_f64 v[2:3], v[2:3], s[0:1]
	global_store_dwordx4 v[12:13], v[0:3], off
	global_load_dwordx4 v[0:3], v[16:17], off offset:2176
	ds_read_b128 v[4:7], v168 offset:6272
	ds_read_b128 v[8:11], v168 offset:7056
	v_mad_u64_u32 v[12:13], s[6:7], s4, v24, v[12:13]
	v_add_u32_e32 v13, s2, v13
	s_waitcnt vmcnt(0) lgkmcnt(1)
	v_mul_f64 v[22:23], v[6:7], v[2:3]
	v_mul_f64 v[2:3], v[4:5], v[2:3]
	v_fmac_f64_e32 v[22:23], v[4:5], v[0:1]
	v_fma_f64 v[2:3], v[0:1], v[6:7], -v[2:3]
	v_mul_f64 v[0:1], v[22:23], s[0:1]
	v_mul_f64 v[2:3], v[2:3], s[0:1]
	global_store_dwordx4 v[12:13], v[0:3], off
	global_load_dwordx4 v[0:3], v[16:17], off offset:2960
	v_mad_u64_u32 v[12:13], s[6:7], s4, v24, v[12:13]
	v_add_u32_e32 v13, s2, v13
	s_waitcnt vmcnt(0) lgkmcnt(0)
	v_mul_f64 v[4:5], v[10:11], v[2:3]
	v_mul_f64 v[2:3], v[8:9], v[2:3]
	v_fmac_f64_e32 v[4:5], v[8:9], v[0:1]
	v_fma_f64 v[2:3], v[0:1], v[10:11], -v[2:3]
	v_mul_f64 v[0:1], v[4:5], s[0:1]
	v_mul_f64 v[2:3], v[2:3], s[0:1]
	global_store_dwordx4 v[12:13], v[0:3], off
	global_load_dwordx4 v[0:3], v[16:17], off offset:3744
	ds_read_b128 v[4:7], v168 offset:7840
	ds_read_b128 v[8:11], v168 offset:8624
	v_mad_u64_u32 v[12:13], s[6:7], s4, v24, v[12:13]
	v_add_co_u32_e32 v16, vcc, s3, v14
	v_add_u32_e32 v13, s2, v13
	s_nop 0
	v_addc_co_u32_e32 v17, vcc, 0, v15, vcc
	s_movk_i32 s3, 0x3000
	s_waitcnt vmcnt(0) lgkmcnt(1)
	v_mul_f64 v[22:23], v[6:7], v[2:3]
	v_mul_f64 v[2:3], v[4:5], v[2:3]
	v_fmac_f64_e32 v[22:23], v[4:5], v[0:1]
	v_fma_f64 v[2:3], v[0:1], v[6:7], -v[2:3]
	v_mul_f64 v[0:1], v[22:23], s[0:1]
	v_mul_f64 v[2:3], v[2:3], s[0:1]
	global_store_dwordx4 v[12:13], v[0:3], off
	global_load_dwordx4 v[0:3], v[16:17], off offset:432
	v_mad_u64_u32 v[12:13], s[6:7], s4, v24, v[12:13]
	v_add_u32_e32 v13, s2, v13
	s_waitcnt vmcnt(0) lgkmcnt(0)
	v_mul_f64 v[4:5], v[10:11], v[2:3]
	v_mul_f64 v[2:3], v[8:9], v[2:3]
	v_fmac_f64_e32 v[4:5], v[8:9], v[0:1]
	v_fma_f64 v[2:3], v[0:1], v[10:11], -v[2:3]
	v_mul_f64 v[0:1], v[4:5], s[0:1]
	v_mul_f64 v[2:3], v[2:3], s[0:1]
	global_store_dwordx4 v[12:13], v[0:3], off
	global_load_dwordx4 v[0:3], v[16:17], off offset:1216
	ds_read_b128 v[4:7], v168 offset:9408
	ds_read_b128 v[8:11], v168 offset:10192
	v_mad_u64_u32 v[12:13], s[6:7], s4, v24, v[12:13]
	v_add_u32_e32 v13, s2, v13
	s_waitcnt vmcnt(0) lgkmcnt(1)
	v_mul_f64 v[22:23], v[6:7], v[2:3]
	v_mul_f64 v[2:3], v[4:5], v[2:3]
	v_fmac_f64_e32 v[22:23], v[4:5], v[0:1]
	v_fma_f64 v[2:3], v[0:1], v[6:7], -v[2:3]
	v_mul_f64 v[0:1], v[22:23], s[0:1]
	v_mul_f64 v[2:3], v[2:3], s[0:1]
	global_store_dwordx4 v[12:13], v[0:3], off
	global_load_dwordx4 v[0:3], v[16:17], off offset:2000
	v_mad_u64_u32 v[12:13], s[6:7], s4, v24, v[12:13]
	v_add_u32_e32 v13, s2, v13
	s_waitcnt vmcnt(0) lgkmcnt(0)
	v_mul_f64 v[4:5], v[10:11], v[2:3]
	v_mul_f64 v[2:3], v[8:9], v[2:3]
	v_fmac_f64_e32 v[4:5], v[8:9], v[0:1]
	v_fma_f64 v[2:3], v[0:1], v[10:11], -v[2:3]
	v_mul_f64 v[0:1], v[4:5], s[0:1]
	v_mul_f64 v[2:3], v[2:3], s[0:1]
	global_store_dwordx4 v[12:13], v[0:3], off
	global_load_dwordx4 v[0:3], v[16:17], off offset:2784
	ds_read_b128 v[4:7], v168 offset:10976
	ds_read_b128 v[8:11], v168 offset:11760
	v_mad_u64_u32 v[12:13], s[6:7], s4, v24, v[12:13]
	v_add_u32_e32 v13, s2, v13
	s_waitcnt vmcnt(0) lgkmcnt(1)
	v_mul_f64 v[22:23], v[6:7], v[2:3]
	v_mul_f64 v[2:3], v[4:5], v[2:3]
	v_fmac_f64_e32 v[22:23], v[4:5], v[0:1]
	v_fma_f64 v[2:3], v[0:1], v[6:7], -v[2:3]
	v_mul_f64 v[0:1], v[22:23], s[0:1]
	v_mul_f64 v[2:3], v[2:3], s[0:1]
	global_store_dwordx4 v[12:13], v[0:3], off
	global_load_dwordx4 v[0:3], v[16:17], off offset:3568
	v_mad_u64_u32 v[6:7], s[6:7], s4, v24, v[12:13]
	v_add_co_u32_e32 v4, vcc, s3, v14
	v_add_u32_e32 v7, s2, v7
	s_nop 0
	v_addc_co_u32_e32 v5, vcc, 0, v15, vcc
	s_waitcnt vmcnt(0) lgkmcnt(0)
	v_mul_f64 v[12:13], v[10:11], v[2:3]
	v_mul_f64 v[2:3], v[8:9], v[2:3]
	v_fmac_f64_e32 v[12:13], v[8:9], v[0:1]
	v_fma_f64 v[2:3], v[0:1], v[10:11], -v[2:3]
	v_mul_f64 v[0:1], v[12:13], s[0:1]
	v_mul_f64 v[2:3], v[2:3], s[0:1]
	global_store_dwordx4 v[6:7], v[0:3], off
	global_load_dwordx4 v[0:3], v[4:5], off offset:256
	v_mad_u64_u32 v[4:5], s[4:5], s4, v24, v[6:7]
	v_add_u32_e32 v5, s2, v5
	s_waitcnt vmcnt(0)
	v_mul_f64 v[6:7], v[20:21], v[2:3]
	v_mul_f64 v[2:3], v[18:19], v[2:3]
	v_fmac_f64_e32 v[6:7], v[18:19], v[0:1]
	v_fma_f64 v[2:3], v[0:1], v[20:21], -v[2:3]
	v_mul_f64 v[0:1], v[6:7], s[0:1]
	v_mul_f64 v[2:3], v[2:3], s[0:1]
	global_store_dwordx4 v[4:5], v[0:3], off
.LBB0_15:
	s_endpgm
	.section	.rodata,"a",@progbits
	.p2align	6, 0x0
	.amdhsa_kernel bluestein_single_fwd_len833_dim1_dp_op_CI_CI
		.amdhsa_group_segment_fixed_size 13328
		.amdhsa_private_segment_fixed_size 0
		.amdhsa_kernarg_size 104
		.amdhsa_user_sgpr_count 2
		.amdhsa_user_sgpr_dispatch_ptr 0
		.amdhsa_user_sgpr_queue_ptr 0
		.amdhsa_user_sgpr_kernarg_segment_ptr 1
		.amdhsa_user_sgpr_dispatch_id 0
		.amdhsa_user_sgpr_kernarg_preload_length 0
		.amdhsa_user_sgpr_kernarg_preload_offset 0
		.amdhsa_user_sgpr_private_segment_size 0
		.amdhsa_uses_dynamic_stack 0
		.amdhsa_enable_private_segment 0
		.amdhsa_system_sgpr_workgroup_id_x 1
		.amdhsa_system_sgpr_workgroup_id_y 0
		.amdhsa_system_sgpr_workgroup_id_z 0
		.amdhsa_system_sgpr_workgroup_info 0
		.amdhsa_system_vgpr_workitem_id 0
		.amdhsa_next_free_vgpr 358
		.amdhsa_next_free_sgpr 60
		.amdhsa_accum_offset 256
		.amdhsa_reserve_vcc 1
		.amdhsa_float_round_mode_32 0
		.amdhsa_float_round_mode_16_64 0
		.amdhsa_float_denorm_mode_32 3
		.amdhsa_float_denorm_mode_16_64 3
		.amdhsa_dx10_clamp 1
		.amdhsa_ieee_mode 1
		.amdhsa_fp16_overflow 0
		.amdhsa_tg_split 0
		.amdhsa_exception_fp_ieee_invalid_op 0
		.amdhsa_exception_fp_denorm_src 0
		.amdhsa_exception_fp_ieee_div_zero 0
		.amdhsa_exception_fp_ieee_overflow 0
		.amdhsa_exception_fp_ieee_underflow 0
		.amdhsa_exception_fp_ieee_inexact 0
		.amdhsa_exception_int_div_zero 0
	.end_amdhsa_kernel
	.text
.Lfunc_end0:
	.size	bluestein_single_fwd_len833_dim1_dp_op_CI_CI, .Lfunc_end0-bluestein_single_fwd_len833_dim1_dp_op_CI_CI
                                        ; -- End function
	.section	.AMDGPU.csdata,"",@progbits
; Kernel info:
; codeLenInByte = 23312
; NumSgprs: 66
; NumVgprs: 256
; NumAgprs: 102
; TotalNumVgprs: 358
; ScratchSize: 0
; MemoryBound: 0
; FloatMode: 240
; IeeeMode: 1
; LDSByteSize: 13328 bytes/workgroup (compile time only)
; SGPRBlocks: 8
; VGPRBlocks: 44
; NumSGPRsForWavesPerEU: 66
; NumVGPRsForWavesPerEU: 358
; AccumOffset: 256
; Occupancy: 1
; WaveLimiterHint : 1
; COMPUTE_PGM_RSRC2:SCRATCH_EN: 0
; COMPUTE_PGM_RSRC2:USER_SGPR: 2
; COMPUTE_PGM_RSRC2:TRAP_HANDLER: 0
; COMPUTE_PGM_RSRC2:TGID_X_EN: 1
; COMPUTE_PGM_RSRC2:TGID_Y_EN: 0
; COMPUTE_PGM_RSRC2:TGID_Z_EN: 0
; COMPUTE_PGM_RSRC2:TIDIG_COMP_CNT: 0
; COMPUTE_PGM_RSRC3_GFX90A:ACCUM_OFFSET: 63
; COMPUTE_PGM_RSRC3_GFX90A:TG_SPLIT: 0
	.text
	.p2alignl 6, 3212836864
	.fill 256, 4, 3212836864
	.type	__hip_cuid_3a5f94e46ff56125,@object ; @__hip_cuid_3a5f94e46ff56125
	.section	.bss,"aw",@nobits
	.globl	__hip_cuid_3a5f94e46ff56125
__hip_cuid_3a5f94e46ff56125:
	.byte	0                               ; 0x0
	.size	__hip_cuid_3a5f94e46ff56125, 1

	.ident	"AMD clang version 19.0.0git (https://github.com/RadeonOpenCompute/llvm-project roc-6.4.0 25133 c7fe45cf4b819c5991fe208aaa96edf142730f1d)"
	.section	".note.GNU-stack","",@progbits
	.addrsig
	.addrsig_sym __hip_cuid_3a5f94e46ff56125
	.amdgpu_metadata
---
amdhsa.kernels:
  - .agpr_count:     102
    .args:
      - .actual_access:  read_only
        .address_space:  global
        .offset:         0
        .size:           8
        .value_kind:     global_buffer
      - .actual_access:  read_only
        .address_space:  global
        .offset:         8
        .size:           8
        .value_kind:     global_buffer
      - .actual_access:  read_only
        .address_space:  global
        .offset:         16
        .size:           8
        .value_kind:     global_buffer
      - .actual_access:  read_only
        .address_space:  global
        .offset:         24
        .size:           8
        .value_kind:     global_buffer
      - .actual_access:  read_only
        .address_space:  global
        .offset:         32
        .size:           8
        .value_kind:     global_buffer
      - .offset:         40
        .size:           8
        .value_kind:     by_value
      - .address_space:  global
        .offset:         48
        .size:           8
        .value_kind:     global_buffer
      - .address_space:  global
        .offset:         56
        .size:           8
        .value_kind:     global_buffer
      - .address_space:  global
        .offset:         64
        .size:           8
        .value_kind:     global_buffer
      - .address_space:  global
        .offset:         72
        .size:           8
        .value_kind:     global_buffer
      - .offset:         80
        .size:           4
        .value_kind:     by_value
      - .address_space:  global
        .offset:         88
        .size:           8
        .value_kind:     global_buffer
      - .address_space:  global
        .offset:         96
        .size:           8
        .value_kind:     global_buffer
    .group_segment_fixed_size: 13328
    .kernarg_segment_align: 8
    .kernarg_segment_size: 104
    .language:       OpenCL C
    .language_version:
      - 2
      - 0
    .max_flat_workgroup_size: 119
    .name:           bluestein_single_fwd_len833_dim1_dp_op_CI_CI
    .private_segment_fixed_size: 0
    .sgpr_count:     66
    .sgpr_spill_count: 0
    .symbol:         bluestein_single_fwd_len833_dim1_dp_op_CI_CI.kd
    .uniform_work_group_size: 1
    .uses_dynamic_stack: false
    .vgpr_count:     358
    .vgpr_spill_count: 0
    .wavefront_size: 64
amdhsa.target:   amdgcn-amd-amdhsa--gfx950
amdhsa.version:
  - 1
  - 2
...

	.end_amdgpu_metadata
